;; amdgpu-corpus repo=ROCm/aiter kind=harvested arch=n/a opt=n/a

/root/src/amdgpu-assembly/repos/ROCm__aiter/hsa/gfx942/fmoe/gelu/fmoe_fp16_pertokenInt8_g1u0_vs_gelu_1tg_32x512.co:	file format elf64-amdgpu

Disassembly of section .text:

0000000000002e00 <_ZN5aiter46fmoe_fp16_pertokenInt8_g1u0_vs_gelu_1tg_32x512E>:
	s_and_b32 s1, s1, 0xffff                                   // 000000002E00: 8601FF01 0000FFFF
	s_load_dwordx2 s[8:9], s[0:1], 0x0                         // 000000002E08: C0060200 00000000
	s_load_dwordx2 s[20:21], s[0:1], 0x10                      // 000000002E10: C0060500 00000010
	s_load_dwordx2 s[24:25], s[0:1], 0x20                      // 000000002E18: C0060600 00000020
	s_load_dwordx2 s[50:51], s[0:1], 0x30                      // 000000002E20: C0060C80 00000030
	s_load_dwordx2 s[12:13], s[0:1], 0x40                      // 000000002E28: C0060300 00000040
	s_load_dwordx2 s[28:29], s[0:1], 0x50                      // 000000002E30: C0060700 00000050
	s_load_dwordx2 s[32:33], s[0:1], 0x60                      // 000000002E38: C0060800 00000060
	s_load_dwordx2 s[16:17], s[0:1], 0x70                      // 000000002E40: C0060400 00000070
	s_load_dwordx2 s[36:37], s[0:1], 0x80                      // 000000002E48: C0060900 00000080
	s_load_dwordx2 s[44:45], s[0:1], 0x90                      // 000000002E50: C0060B00 00000090
	s_load_dwordx2 s[40:41], s[0:1], 0xa0                      // 000000002E58: C0060A00 000000A0
	s_load_dwordx2 s[46:47], s[0:1], 0xb0                      // 000000002E60: C0060B80 000000B0
	s_load_dword s64, s[0:1], 0xc0                             // 000000002E68: C0021000 000000C0
	s_load_dword s65, s[0:1], 0xd0                             // 000000002E70: C0021040 000000D0
	s_load_dword s66, s[0:1], 0xe0                             // 000000002E78: C0021080 000000E0
	s_load_dword s67, s[0:1], 0xf0                             // 000000002E80: C00210C0 000000F0
	s_load_dword s68, s[0:1], 0x100                            // 000000002E88: C0021100 00000100
	s_load_dword s69, s[0:1], 0x110                            // 000000002E90: C0021140 00000110
	s_load_dword s70, s[0:1], 0x120                            // 000000002E98: C0021180 00000120
	s_load_dword s71, s[0:1], 0x130                            // 000000002EA0: C00211C0 00000130
	s_load_dword s72, s[0:1], 0x140                            // 000000002EA8: C0021200 00000140
	s_load_dword s73, s[0:1], 0x150                            // 000000002EB0: C0021240 00000150
	s_load_dword s74, s[0:1], 0x160                            // 000000002EB8: C0021280 00000160
	s_load_dword s75, s[0:1], 0x170                            // 000000002EC0: C00212C0 00000170
	s_load_dword s76, s[0:1], 0x180                            // 000000002EC8: C0021300 00000180
	s_load_dword s63, s[0:1], 0x190                            // 000000002ED0: C0020FC0 00000190
	v_lshrrev_b32_e32 v1, 10, v0                               // 000000002ED8: 2002008A
	v_lshrrev_b32_e32 v2, 10, v1                               // 000000002EDC: 2004028A
	v_and_b32_e32 v2, 0x3ff, v2                                // 000000002EE0: 260404FF 000003FF
	v_and_b32_e32 v1, 0x3ff, v1                                // 000000002EE8: 260202FF 000003FF
	v_and_b32_e32 v0, 0x3ff, v0                                // 000000002EF0: 260000FF 000003FF
	v_lshrrev_b32_e32 v3, 6, v0                                // 000000002EF8: 20060086
	v_and_b32_e32 v0, 63, v0                                   // 000000002EFC: 260000BF
	s_mov_b32 s2, s2                                           // 000000002F00: BE820002
	s_mov_b32 s3, s3                                           // 000000002F04: BE830003
	s_mov_b32 s4, s4                                           // 000000002F08: BE840004
	v_readfirstlane_b32 s7, v3                                 // 000000002F0C: 7E0E0503
	s_waitcnt lgkmcnt(0)                                       // 000000002F10: BF8CC07F
	s_and_b32 s51, s51, 0xffff                                 // 000000002F14: 8633FF33 0000FFFF
	s_load_dword s50, s[50:51], 0x0                            // 000000002F1C: C0020C99 00000000
	s_and_b32 s45, s45, 0xffff                                 // 000000002F24: 862DFF2D 0000FFFF
	s_and_b32 s47, s47, 0xffff                                 // 000000002F2C: 862FFF2F 0000FFFF
	s_and_b32 s9, s9, 0xffff                                   // 000000002F34: 8609FF09 0000FFFF
	s_mul_i32 s60, s66, s68                                    // 000000002F3C: 923C4442
	s_mul_i32 s60, s63, s60                                    // 000000002F40: 923C3C3F
	s_mul_i32 s61, s66, 4                                      // 000000002F44: 923D8442
	s_mul_i32 s61, s63, s61                                    // 000000002F48: 923D3D3F
	s_mov_b32 s22, s60                                         // 000000002F4C: BE96003C
	s_mov_b32 s26, -16                                         // 000000002F50: BE9A00D0
	s_mov_b32 s14, -16                                         // 000000002F54: BE8E00D0
	s_mov_b32 s42, -16                                         // 000000002F58: BEAA00D0
	s_mov_b32 s30, s61                                         // 000000002F5C: BE9E003D
	s_mov_b32 s34, 0x800                                       // 000000002F60: BEA200FF 00000800
	s_mov_b32 s38, 0x800                                       // 000000002F68: BEA600FF 00000800
	s_mov_b32 s18, -16                                         // 000000002F70: BE9200D0
	s_mov_b32 s23, 0x20000                                     // 000000002F74: BE9700FF 00020000
	s_mov_b32 s27, 0x20000                                     // 000000002F7C: BE9B00FF 00020000
	s_mov_b32 s15, 0x20000                                     // 000000002F84: BE8F00FF 00020000
	s_mov_b32 s43, 0x20000                                     // 000000002F8C: BEAB00FF 00020000
	s_mov_b32 s31, 0x20000                                     // 000000002F94: BE9F00FF 00020000
	s_mov_b32 s35, 0x20000                                     // 000000002F9C: BEA300FF 00020000
	s_mov_b32 s39, 0x20000                                     // 000000002FA4: BEA700FF 00020000
	s_mov_b32 s19, 0x20000                                     // 000000002FAC: BE9300FF 00020000
	s_and_b32 s21, s21, 0xffff                                 // 000000002FB4: 8615FF15 0000FFFF
	s_and_b32 s25, s25, 0xffff                                 // 000000002FBC: 8619FF19 0000FFFF
	s_and_b32 s13, s13, 0xffff                                 // 000000002FC4: 860DFF0D 0000FFFF
	s_and_b32 s41, s41, 0xffff                                 // 000000002FCC: 8629FF29 0000FFFF
	s_and_b32 s29, s29, 0xffff                                 // 000000002FD4: 861DFF1D 0000FFFF
	s_and_b32 s33, s33, 0xffff                                 // 000000002FDC: 8621FF21 0000FFFF
	s_and_b32 s37, s37, 0xffff                                 // 000000002FE4: 8625FF25 0000FFFF
	s_and_b32 s17, s17, 0xffff                                 // 000000002FEC: 8611FF11 0000FFFF
	s_or_b32 s21, s21, 0x40000                                 // 000000002FF4: 8715FF15 00040000
	s_or_b32 s25, s25, 0x40000                                 // 000000002FFC: 8719FF19 00040000
	s_or_b32 s13, s13, 0x40000                                 // 000000003004: 870DFF0D 00040000
	s_or_b32 s41, s41, 0x40000                                 // 00000000300C: 8729FF29 00040000
	s_or_b32 s29, s29, 0x40000                                 // 000000003014: 871DFF1D 00040000
	s_or_b32 s33, s33, 0x40000                                 // 00000000301C: 8721FF21 00040000
	s_or_b32 s37, s37, 0x40000                                 // 000000003024: 8725FF25 00040000
	s_or_b32 s17, s17, 0x40000                                 // 00000000302C: 8711FF11 00040000
	v_accvgpr_write_b32 a255, 0                                // 000000003034: D3D940FF 18000080
	v_mov_b32_e32 v255, 0                                      // 00000000303C: 7FFE0280
	s_waitcnt lgkmcnt(0)                                       // 000000003040: BF8CC07F
	s_mul_i32 s60, s3, 32                                      // 000000003044: 923CA003
	s_cmp_lt_i32 s60, s50                                      // 000000003048: BF04323C
	s_cbranch_scc0 label_2069                                  // 00000000304C: BF841FD5
	s_mov_b32 s80, 0                                           // 000000003050: BED00080
	s_mov_b32 s81, s64                                         // 000000003054: BED10040
	s_mul_i32 s60, s3, 4                                       // 000000003058: 923C8403
	s_add_u32 s46, s60, s46                                    // 00000000305C: 802E2E3C
	s_addc_u32 s47, 0, s47                                     // 000000003060: 822F2F80
	s_load_dword s5, s[46:47], 0x0                             // 000000003064: C0020157 00000000
	s_mul_i32 s60, s3, 32                                      // 00000000306C: 923CA003
	s_mul_i32 s60, 4, s60                                      // 000000003070: 923C3C84
	v_and_b32_e32 v50, 15, v0                                  // 000000003074: 2664008F
	v_lshlrev_b32_e32 v50, 2, v50                              // 000000003078: 24646482
	v_add_u32_e32 v50, s60, v50                                // 00000000307C: 6864643C
	v_mov_b32_e32 v51, 0                                       // 000000003080: 7E660280
	global_load_dword v6, v50, s[44:45]                        // 000000003084: DC508000 062C0032
	v_add_u32_e32 v50, 64, v50                                 // 00000000308C: 686464C0
	global_load_dword v7, v50, s[44:45]                        // 000000003090: DC508000 072C0032
	s_mul_i32 s60, s3, 32                                      // 000000003098: 923CA003
	s_add_u32 s60, s7, s60                                     // 00000000309C: 803C3C07
	s_mul_i32 s60, 4, s60                                      // 0000000030A0: 923C3C84
	s_add_u32 s44, s60, s44                                    // 0000000030A4: 802C2C3C
	s_addc_u32 s45, 0, s45                                     // 0000000030A8: 822D2D80
	s_load_dword s82, s[44:45], 0x0                            // 0000000030AC: C0021496 00000000
	s_load_dword s83, s[44:45], 0x10                           // 0000000030B4: C00214D6 00000010
	s_load_dword s84, s[44:45], 0x20                           // 0000000030BC: C0021516 00000020
	s_load_dword s85, s[44:45], 0x30                           // 0000000030C4: C0021556 00000030
	s_load_dword s86, s[44:45], 0x40                           // 0000000030CC: C0021596 00000040
	s_load_dword s87, s[44:45], 0x50                           // 0000000030D4: C00215D6 00000050
	s_load_dword s88, s[44:45], 0x60                           // 0000000030DC: C0021616 00000060
	s_load_dword s89, s[44:45], 0x70                           // 0000000030E4: C0021656 00000070
	s_waitcnt lgkmcnt(0)                                       // 0000000030EC: BF8CC07F
	v_lshlrev_b32_e32 v50, 2, v0                               // 0000000030F0: 24640082
	s_lshr_b32 s61, s82, 24                                    // 0000000030F4: 8F3D9852
	s_mul_i32 s61, s61, s68                                    // 0000000030F8: 923D443D
	s_mul_i32 s61, s61, s66                                    // 0000000030FC: 923D423D
	s_and_b32 s82, s82, 0xffffff                               // 000000003100: 8652FF52 00FFFFFF
	s_mul_i32 s60, s82, s68                                    // 000000003108: 923C4452
	s_add_u32 s60, s61, s60                                    // 00000000310C: 803C3C3D
	v_add_u32_e64 v26, v50, s60                                // 000000003110: D134001A 00007932
	s_lshr_b32 s61, s83, 24                                    // 000000003118: 8F3D9853
	s_mul_i32 s61, s61, s68                                    // 00000000311C: 923D443D
	s_mul_i32 s61, s61, s66                                    // 000000003120: 923D423D
	s_and_b32 s83, s83, 0xffffff                               // 000000003124: 8653FF53 00FFFFFF
	s_mul_i32 s60, s83, s68                                    // 00000000312C: 923C4453
	s_add_u32 s60, s61, s60                                    // 000000003130: 803C3C3D
	v_add_u32_e64 v27, v50, s60                                // 000000003134: D134001B 00007932
	s_lshr_b32 s61, s84, 24                                    // 00000000313C: 8F3D9854
	s_mul_i32 s61, s61, s68                                    // 000000003140: 923D443D
	s_mul_i32 s61, s61, s66                                    // 000000003144: 923D423D
	s_and_b32 s84, s84, 0xffffff                               // 000000003148: 8654FF54 00FFFFFF
	s_mul_i32 s60, s84, s68                                    // 000000003150: 923C4454
	s_add_u32 s60, s61, s60                                    // 000000003154: 803C3C3D
	v_add_u32_e64 v28, v50, s60                                // 000000003158: D134001C 00007932
	s_lshr_b32 s61, s85, 24                                    // 000000003160: 8F3D9855
	s_mul_i32 s61, s61, s68                                    // 000000003164: 923D443D
	s_mul_i32 s61, s61, s66                                    // 000000003168: 923D423D
	s_and_b32 s85, s85, 0xffffff                               // 00000000316C: 8655FF55 00FFFFFF
	s_mul_i32 s60, s85, s68                                    // 000000003174: 923C4455
	s_add_u32 s60, s61, s60                                    // 000000003178: 803C3C3D
	v_add_u32_e64 v29, v50, s60                                // 00000000317C: D134001D 00007932
	s_lshr_b32 s61, s86, 24                                    // 000000003184: 8F3D9856
	s_mul_i32 s61, s61, s68                                    // 000000003188: 923D443D
	s_mul_i32 s61, s61, s66                                    // 00000000318C: 923D423D
	s_and_b32 s86, s86, 0xffffff                               // 000000003190: 8656FF56 00FFFFFF
	s_mul_i32 s60, s86, s68                                    // 000000003198: 923C4456
	s_add_u32 s60, s61, s60                                    // 00000000319C: 803C3C3D
	v_add_u32_e64 v30, v50, s60                                // 0000000031A0: D134001E 00007932
	s_lshr_b32 s61, s87, 24                                    // 0000000031A8: 8F3D9857
	s_mul_i32 s61, s61, s68                                    // 0000000031AC: 923D443D
	s_mul_i32 s61, s61, s66                                    // 0000000031B0: 923D423D
	s_and_b32 s87, s87, 0xffffff                               // 0000000031B4: 8657FF57 00FFFFFF
	s_mul_i32 s60, s87, s68                                    // 0000000031BC: 923C4457
	s_add_u32 s60, s61, s60                                    // 0000000031C0: 803C3C3D
	v_add_u32_e64 v31, v50, s60                                // 0000000031C4: D134001F 00007932
	s_lshr_b32 s61, s88, 24                                    // 0000000031CC: 8F3D9858
	s_mul_i32 s61, s61, s68                                    // 0000000031D0: 923D443D
	s_mul_i32 s61, s61, s66                                    // 0000000031D4: 923D423D
	s_and_b32 s88, s88, 0xffffff                               // 0000000031D8: 8658FF58 00FFFFFF
	s_mul_i32 s60, s88, s68                                    // 0000000031E0: 923C4458
	s_add_u32 s60, s61, s60                                    // 0000000031E4: 803C3C3D
	v_add_u32_e64 v32, v50, s60                                // 0000000031E8: D1340020 00007932
	s_lshr_b32 s61, s89, 24                                    // 0000000031F0: 8F3D9859
	s_mul_i32 s61, s61, s68                                    // 0000000031F4: 923D443D
	s_mul_i32 s61, s61, s66                                    // 0000000031F8: 923D423D
	s_and_b32 s89, s89, 0xffffff                               // 0000000031FC: 8659FF59 00FFFFFF
	s_mul_i32 s60, s89, s68                                    // 000000003204: 923C4459
	s_add_u32 s60, s61, s60                                    // 000000003208: 803C3C3D
	v_add_u32_e64 v33, v50, s60                                // 00000000320C: D1340021 00007932
	v_lshlrev_b32_e32 v50, 2, v0                               // 000000003214: 24640082
	s_mul_i32 s60, s82, s71                                    // 000000003218: 923C4752
	v_add_u32_e64 v80, v50, s60                                // 00000000321C: D1340050 00007932
	v_mov_b32_e32 v81, 0                                       // 000000003224: 7EA20280
	s_mul_i32 s60, s83, s71                                    // 000000003228: 923C4753
	v_add_u32_e64 v82, v50, s60                                // 00000000322C: D1340052 00007932
	v_mov_b32_e32 v83, 0                                       // 000000003234: 7EA60280
	s_mul_i32 s60, s84, s71                                    // 000000003238: 923C4754
	v_add_u32_e64 v84, v50, s60                                // 00000000323C: D1340054 00007932
	v_mov_b32_e32 v85, 0                                       // 000000003244: 7EAA0280
	s_mul_i32 s60, s85, s71                                    // 000000003248: 923C4755
	v_add_u32_e64 v86, v50, s60                                // 00000000324C: D1340056 00007932
	v_mov_b32_e32 v87, 0                                       // 000000003254: 7EAE0280
	s_mul_i32 s60, s86, s71                                    // 000000003258: 923C4756
	v_add_u32_e64 v88, v50, s60                                // 00000000325C: D1340058 00007932
	v_mov_b32_e32 v89, 0                                       // 000000003264: 7EB20280
	s_mul_i32 s60, s87, s71                                    // 000000003268: 923C4757
	v_add_u32_e64 v90, v50, s60                                // 00000000326C: D134005A 00007932
	v_mov_b32_e32 v91, 0                                       // 000000003274: 7EB60280
	s_mul_i32 s60, s88, s71                                    // 000000003278: 923C4758
	v_add_u32_e64 v92, v50, s60                                // 00000000327C: D134005C 00007932
	v_mov_b32_e32 v93, 0                                       // 000000003284: 7EBA0280
	s_mul_i32 s60, s89, s71                                    // 000000003288: 923C4759
	v_add_u32_e64 v94, v50, s60                                // 00000000328C: D134005E 00007932
	v_mov_b32_e32 v95, 0                                       // 000000003294: 7EBE0280
	s_mul_i32 s60, s7, 0x820                                   // 000000003298: 923CFF07 00000820
	s_add_u32 s50, 0, s60                                      // 0000000032A0: 80323C80
	s_add_u32 s51, 0x2080, s50                                 // 0000000032A4: 803332FF 00002080
	v_lshrrev_b32_e32 v50, 4, v0                               // 0000000032AC: 20640084
	v_lshlrev_b32_e32 v51, 2, v50                              // 0000000032B0: 24666482
	v_and_b32_e32 v50, 15, v0                                  // 0000000032B4: 2664008F
	v_lshrrev_b32_e32 v52, 2, v50                              // 0000000032B8: 20686482
	v_lshlrev_b32_e32 v52, 6, v52                              // 0000000032BC: 24686886
	v_add_u32_e32 v51, v52, v51                                // 0000000032C0: 68666734
	v_and_b32_e32 v50, 3, v0                                   // 0000000032C4: 26640083
	v_mul_i32_i24_e32 v52, 0x208, v50                          // 0000000032C8: 0C6864FF 00000208
	v_add_u32_e32 v51, v52, v51                                // 0000000032D0: 68666734
	v_lshlrev_b32_e32 v2, 2, v51                               // 0000000032D4: 24046682
	s_mul_i32 s60, s2, 0x200                                   // 0000000032D8: 923CFF02 00000200
	s_mul_i32 s60, s60, s69                                    // 0000000032E0: 923C453C
	s_mul_i32 s61, s5, s72                                     // 0000000032E4: 923D4805
	s_add_u32 s60, s61, s60                                    // 0000000032E8: 803C3C3D
	s_add_u32 s24, s60, s24                                    // 0000000032EC: 8018183C
	s_addc_u32 s25, 0, s25                                     // 0000000032F0: 82191980
	s_mul_i32 s60, s7, 16                                      // 0000000032F4: 923C9007
	s_mul_i32 s60, s60, s69                                    // 0000000032F8: 923C453C
	v_lshlrev_b32_e32 v34, 4, v0                               // 0000000032FC: 24440084
	v_add_u32_e32 v34, s60, v34                                // 000000003300: 6844443C
	s_mul_i32 s60, 64, s69                                     // 000000003304: 923C45C0
	v_add_u32_e32 v35, s60, v34                                // 000000003308: 6846443C
	v_add_u32_e32 v36, s60, v35                                // 00000000330C: 6848463C
	v_add_u32_e32 v37, s60, v36                                // 000000003310: 684A483C
	v_add_u32_e32 v38, s60, v37                                // 000000003314: 684C4A3C
	v_add_u32_e32 v39, s60, v38                                // 000000003318: 684E4C3C
	v_add_u32_e32 v40, s60, v39                                // 00000000331C: 68504E3C
	v_add_u32_e32 v41, s60, v40                                // 000000003320: 6852503C
	s_mul_i32 s60, s2, 0x2000                                  // 000000003324: 923CFF02 00002000
	s_mul_i32 s61, s5, s73                                     // 00000000332C: 923D4905
	s_add_u32 s60, s61, s60                                    // 000000003330: 803C3C3D
	s_add_u32 s12, s60, s12                                    // 000000003334: 800C0C3C
	s_addc_u32 s13, 0, s13                                     // 000000003338: 820D0D80
	s_mul_i32 s60, s7, 16                                      // 00000000333C: 923C9007
	s_mul_i32 s60, s60, s70                                    // 000000003340: 923C463C
	v_lshlrev_b32_e32 v42, 4, v0                               // 000000003344: 24540084
	v_add_u32_e32 v42, s60, v42                                // 000000003348: 6854543C
	s_mul_i32 s60, 64, s70                                     // 00000000334C: 923C46C0
	v_add_u32_e32 v43, s60, v42                                // 000000003350: 6856543C
	v_add_u32_e32 v44, s60, v43                                // 000000003354: 6858563C
	v_add_u32_e32 v45, s60, v44                                // 000000003358: 685A583C
	s_mul_i32 s60, s3, 32                                      // 00000000335C: 923CA003
	s_mul_i32 s60, 4, s60                                      // 000000003360: 923C3C84
	s_add_u32 s40, s60, s40                                    // 000000003364: 8028283C
	s_addc_u32 s41, 0, s41                                     // 000000003368: 82292980
	v_and_b32_e32 v50, 15, v0                                  // 00000000336C: 2664008F
	v_lshlrev_b32_e32 v8, 2, v50                               // 000000003370: 24106482
	v_add_u32_e32 v9, 64, v8                                   // 000000003374: 681210C0
	v_lshrrev_b32_e32 v50, 4, v0                               // 000000003378: 20640084
	v_lshlrev_b32_e32 v51, 2, v50                              // 00000000337C: 24666482
	v_and_b32_e32 v50, 15, v0                                  // 000000003380: 2664008F
	v_lshrrev_b32_e32 v52, 2, v50                              // 000000003384: 20686482
	v_lshlrev_b32_e32 v52, 6, v52                              // 000000003388: 24686886
	v_add_u32_e32 v51, v52, v51                                // 00000000338C: 68666734
	v_and_b32_e32 v50, 3, v0                                   // 000000003390: 26640083
	v_add_u32_e32 v51, v50, v51                                // 000000003394: 68666732
	v_lshlrev_b32_e32 v10, 2, v51                              // 000000003398: 24146682
	v_add_u32_e32 v11, 0x400, v10                              // 00000000339C: 681614FF 00000400
	s_mul_i32 s60, s7, 16                                      // 0000000033A4: 923C9007
	s_mul_i32 s60, s60, 4                                      // 0000000033A8: 923C843C
	v_add_u32_e32 v10, s60, v10                                // 0000000033AC: 6814143C
	v_add_u32_e32 v11, s60, v11                                // 0000000033B0: 6816163C
	v_mov_b32_e32 v5, v10                                      // 0000000033B4: 7E0A030A
	s_mul_i32 s60, s2, 0x200                                   // 0000000033B8: 923CFF02 00000200
	s_mul_i32 s60, s60, 4                                      // 0000000033C0: 923C843C
	s_mul_i32 s61, s5, s74                                     // 0000000033C4: 923D4A05
	s_add_u32 s61, s61, s60                                    // 0000000033C8: 803D3C3D
	s_mul_i32 s62, s5, s76                                     // 0000000033CC: 923E4C05
	s_add_u32 s62, s62, s60                                    // 0000000033D0: 803E3C3E
	s_add_u32 s32, s61, s32                                    // 0000000033D4: 8020203D
	s_addc_u32 s33, 0, s33                                     // 0000000033D8: 82212180
	s_add_u32 s36, s62, s36                                    // 0000000033DC: 8024243E
	s_addc_u32 s37, 0, s37                                     // 0000000033E0: 82252580
	s_mul_i32 s60, s5, s75                                     // 0000000033E4: 923C4B05
	s_add_u32 s16, s60, s16                                    // 0000000033E8: 8010103C
	s_addc_u32 s17, 0, s17                                     // 0000000033EC: 82111180
	s_mov_b32 s57, 0x100                                       // 0000000033F0: BEB900FF 00000100
	s_mov_b32 s58, 0x1000                                      // 0000000033F8: BEBA00FF 00001000
	s_mov_b32 s79, 0x400                                       // 000000003400: BECF00FF 00000400
	s_mov_b32 s59, 0x200                                       // 000000003408: BEBB00FF 00000200
	s_mul_i32 s60, s70, 0x100                                  // 000000003410: 923CFF46 00000100
	s_mov_b32 s78, 0x400                                       // 000000003418: BECE00FF 00000400
	s_mul_i32 s61, s78, 7                                      // 000000003420: 923D874E
	s_sub_u32 s56, s60, s61                                    // 000000003424: 80B83D3C
	s_mov_b32 s52, 0x7060302                                   // 000000003428: BEB400FF 07060302
	s_mov_b32 s53, 0x400                                       // 000000003430: BEB500FF 00000400
	s_mov_b32 s54, 0x40100                                     // 000000003438: BEB600FF 00040100
	s_mov_b32 s55, 0x4020100                                   // 000000003440: BEB700FF 04020100
	s_mov_b32 s6, 0x3fb8aa3b                                   // 000000003448: BE8600FF 3FB8AA3B
	s_mov_b32 s77, 0xbd92220c                                  // 000000003450: BECD00FF BD92220C
	s_mov_b32 m0, s50                                          // 000000003458: BEFC0032
	v_mov_b32_e32 v1, 0xbfcc4231                               // 00000000345C: 7E0202FF BFCC4231
	v_mov_b32_e32 v47, 0xffff0000                              // 000000003464: 7E5E02FF FFFF0000
	v_mov_b32_e32 v48, 0x7fff0000                              // 00000000346C: 7E6002FF 7FFF0000
	v_mov_b32_e32 v49, 0x7fff                                  // 000000003474: 7E6202FF 00007FFF
	s_waitcnt vmcnt(0) expcnt(0) lgkmcnt(0)                    // 00000000347C: BF8C0000
	v_lshrrev_b32_e32 v50, 24, v6                              // 000000003480: 20640C98
	v_mul_i32_i24_e32 v50, s66, v50                            // 000000003484: 0C646442
	v_and_b32_e32 v51, 0xffffff, v6                            // 000000003488: 26660CFF 00FFFFFF
	v_add_u32_e32 v6, v50, v51                                 // 000000003490: 680C6732
	v_lshrrev_b32_e32 v50, 24, v7                              // 000000003494: 20640E98
	v_mul_i32_i24_e32 v50, s66, v50                            // 000000003498: 0C646442
	v_and_b32_e32 v51, 0xffffff, v7                            // 00000000349C: 26660EFF 00FFFFFF
	v_add_u32_e32 v7, v50, v51                                 // 0000000034A4: 680E6732
	v_lshlrev_b32_e32 v6, 2, v6                                // 0000000034A8: 240C0C82
	v_lshlrev_b32_e32 v7, 2, v7                                // 0000000034AC: 240E0E82
	buffer_load_dword v14, v6, s[28:31], 0 offen               // 0000000034B0: E0501000 80070E06
	buffer_load_dword v15, v7, s[28:31], 0 offen               // 0000000034B8: E0501000 80070F07
	buffer_load_dword v16, v10, s[32:35], 0 offen              // 0000000034C0: E0501000 8008100A
	buffer_load_dword v17, v11, s[32:35], 0 offen              // 0000000034C8: E0501000 8008110B
	buffer_load_dword v18, v10, s[36:39], 0 offen              // 0000000034D0: E0501000 8009120A
	buffer_load_dword v19, v11, s[36:39], 0 offen              // 0000000034D8: E0501000 8009130B
	buffer_load_dword v20, v8, s[40:43], 0 offen               // 0000000034E0: E0501000 800A1408
	buffer_load_dword v21, v9, s[40:43], 0 offen               // 0000000034E8: E0501000 800A1509
	buffer_load_dword v26, s[20:23], 0 offen lds               // 0000000034F0: E0511000 8005001A
	s_add_u32 m0, 0x100, s50                                   // 0000000034F8: 807C32FF 00000100
	buffer_load_dword v27, s[20:23], 0 offen lds               // 000000003500: E0511000 8005001B
	s_add_u32 m0, 0x200, s50                                   // 000000003508: 807C32FF 00000200
	buffer_load_dword v28, s[20:23], 0 offen lds               // 000000003510: E0511000 8005001C
	s_add_u32 m0, 0x300, s50                                   // 000000003518: 807C32FF 00000300
	buffer_load_dword v29, s[20:23], 0 offen lds               // 000000003520: E0511000 8005001D
	s_add_u32 m0, 0x400, s50                                   // 000000003528: 807C32FF 00000400
	buffer_load_dword v30, s[20:23], 0 offen lds               // 000000003530: E0511000 8005001E
	s_add_u32 m0, 0x500, s50                                   // 000000003538: 807C32FF 00000500
	buffer_load_dword v31, s[20:23], 0 offen lds               // 000000003540: E0511000 8005001F
	s_add_u32 m0, 0x600, s50                                   // 000000003548: 807C32FF 00000600
	buffer_load_dword v32, s[20:23], 0 offen lds               // 000000003550: E0511000 80050020
	s_add_u32 m0, 0x700, s50                                   // 000000003558: 807C32FF 00000700
	buffer_load_dword v33, s[20:23], 0 offen lds               // 000000003560: E0511000 80050021
	s_add_u32 m0, 0, s51                                       // 000000003568: 807C3380
	s_add_u32 s20, s57, s20                                    // 00000000356C: 80141439
	s_addc_u32 s21, 0, s21                                     // 000000003570: 82151580
	buffer_load_dword v26, s[20:23], 0 offen lds               // 000000003574: E0511000 8005001A
	s_add_u32 m0, 0x100, s51                                   // 00000000357C: 807C33FF 00000100
	buffer_load_dword v27, s[20:23], 0 offen lds               // 000000003584: E0511000 8005001B
	s_add_u32 m0, 0x200, s51                                   // 00000000358C: 807C33FF 00000200
	buffer_load_dword v28, s[20:23], 0 offen lds               // 000000003594: E0511000 8005001C
	s_add_u32 m0, 0x300, s51                                   // 00000000359C: 807C33FF 00000300
	buffer_load_dword v29, s[20:23], 0 offen lds               // 0000000035A4: E0511000 8005001D
	s_add_u32 m0, 0x400, s51                                   // 0000000035AC: 807C33FF 00000400
	buffer_load_dword v30, s[20:23], 0 offen lds               // 0000000035B4: E0511000 8005001E
	s_add_u32 m0, 0x500, s51                                   // 0000000035BC: 807C33FF 00000500
	buffer_load_dword v31, s[20:23], 0 offen lds               // 0000000035C4: E0511000 8005001F
	s_add_u32 m0, 0x600, s51                                   // 0000000035CC: 807C33FF 00000600
	buffer_load_dword v32, s[20:23], 0 offen lds               // 0000000035D4: E0511000 80050020
	s_add_u32 m0, 0x700, s51                                   // 0000000035DC: 807C33FF 00000700
	buffer_load_dword v33, s[20:23], 0 offen lds               // 0000000035E4: E0511000 80050021
	s_add_u32 m0, 0, s50                                       // 0000000035EC: 807C3280
	s_add_u32 s20, s57, s20                                    // 0000000035F0: 80141439
	s_addc_u32 s21, 0, s21                                     // 0000000035F4: 82151580
	buffer_load_dwordx4 a[0:3], v34, s[24:27], 0 offen         // 0000000035F8: E05C1000 80860022
	buffer_load_dwordx4 a[4:7], v34, s[24:27], 0 offen offset:1024// 000000003600: E05C1400 80860422
	buffer_load_dwordx4 a[8:11], v34, s[24:27], 0 offen offset:2048// 000000003608: E05C1800 80860822
	buffer_load_dwordx4 a[12:15], v34, s[24:27], 0 offen offset:3072// 000000003610: E05C1C00 80860C22
	buffer_load_dwordx4 a[16:19], v35, s[24:27], 0 offen       // 000000003618: E05C1000 80861023
	buffer_load_dwordx4 a[20:23], v35, s[24:27], 0 offen offset:1024// 000000003620: E05C1400 80861423
	buffer_load_dwordx4 a[24:27], v35, s[24:27], 0 offen offset:2048// 000000003628: E05C1800 80861823
	buffer_load_dwordx4 a[28:31], v35, s[24:27], 0 offen offset:3072// 000000003630: E05C1C00 80861C23
	buffer_load_dwordx4 a[32:35], v36, s[24:27], 0 offen       // 000000003638: E05C1000 80862024
	buffer_load_dwordx4 a[36:39], v36, s[24:27], 0 offen offset:1024// 000000003640: E05C1400 80862424
	buffer_load_dwordx4 a[40:43], v36, s[24:27], 0 offen offset:2048// 000000003648: E05C1800 80862824
	buffer_load_dwordx4 a[44:47], v36, s[24:27], 0 offen offset:3072// 000000003650: E05C1C00 80862C24
	buffer_load_dwordx4 a[48:51], v37, s[24:27], 0 offen       // 000000003658: E05C1000 80863025
	buffer_load_dwordx4 a[52:55], v37, s[24:27], 0 offen offset:1024// 000000003660: E05C1400 80863425
	buffer_load_dwordx4 a[56:59], v37, s[24:27], 0 offen offset:2048// 000000003668: E05C1800 80863825
	buffer_load_dwordx4 a[60:63], v37, s[24:27], 0 offen offset:3072// 000000003670: E05C1C00 80863C25
	buffer_load_dwordx4 a[64:67], v38, s[24:27], 0 offen       // 000000003678: E05C1000 80864026
	buffer_load_dwordx4 a[68:71], v38, s[24:27], 0 offen offset:1024// 000000003680: E05C1400 80864426
	buffer_load_dwordx4 a[72:75], v38, s[24:27], 0 offen offset:2048// 000000003688: E05C1800 80864826
	buffer_load_dwordx4 a[76:79], v38, s[24:27], 0 offen offset:3072// 000000003690: E05C1C00 80864C26
	buffer_load_dwordx4 a[80:83], v39, s[24:27], 0 offen       // 000000003698: E05C1000 80865027
	buffer_load_dwordx4 a[84:87], v39, s[24:27], 0 offen offset:1024// 0000000036A0: E05C1400 80865427
	buffer_load_dwordx4 a[88:91], v39, s[24:27], 0 offen offset:2048// 0000000036A8: E05C1800 80865827
	buffer_load_dwordx4 a[92:95], v39, s[24:27], 0 offen offset:3072// 0000000036B0: E05C1C00 80865C27
	buffer_load_dwordx4 a[96:99], v40, s[24:27], 0 offen       // 0000000036B8: E05C1000 80866028
	buffer_load_dwordx4 a[100:103], v40, s[24:27], 0 offen offset:1024// 0000000036C0: E05C1400 80866428
	buffer_load_dwordx4 a[104:107], v40, s[24:27], 0 offen offset:2048// 0000000036C8: E05C1800 80866828
	buffer_load_dwordx4 a[108:111], v40, s[24:27], 0 offen offset:3072// 0000000036D0: E05C1C00 80866C28
	buffer_load_dwordx4 a[112:115], v41, s[24:27], 0 offen     // 0000000036D8: E05C1000 80867029
	buffer_load_dwordx4 a[116:119], v41, s[24:27], 0 offen offset:1024// 0000000036E0: E05C1400 80867429
	buffer_load_dwordx4 a[120:123], v41, s[24:27], 0 offen offset:2048// 0000000036E8: E05C1800 80867829
	buffer_load_dwordx4 a[124:127], v41, s[24:27], 0 offen offset:3072// 0000000036F0: E05C1C00 80867C29
	s_add_u32 s24, s58, s24                                    // 0000000036F8: 8018183A
	s_addc_u32 s25, 0, s25                                     // 0000000036FC: 82191980
	v_mov_b32_e32 v128, 0                                      // 000000003700: 7F000280
	v_mov_b32_e32 v129, 0                                      // 000000003704: 7F020280
	v_mov_b32_e32 v130, 0                                      // 000000003708: 7F040280
	v_mov_b32_e32 v131, 0                                      // 00000000370C: 7F060280
	v_mov_b32_e32 v132, 0                                      // 000000003710: 7F080280
	v_mov_b32_e32 v133, 0                                      // 000000003714: 7F0A0280
	v_mov_b32_e32 v134, 0                                      // 000000003718: 7F0C0280
	v_mov_b32_e32 v135, 0                                      // 00000000371C: 7F0E0280
	v_mov_b32_e32 v136, 0                                      // 000000003720: 7F100280
	v_mov_b32_e32 v137, 0                                      // 000000003724: 7F120280
	v_mov_b32_e32 v138, 0                                      // 000000003728: 7F140280
	v_mov_b32_e32 v139, 0                                      // 00000000372C: 7F160280
	v_mov_b32_e32 v140, 0                                      // 000000003730: 7F180280
	v_mov_b32_e32 v141, 0                                      // 000000003734: 7F1A0280
	v_mov_b32_e32 v142, 0                                      // 000000003738: 7F1C0280
	v_mov_b32_e32 v143, 0                                      // 00000000373C: 7F1E0280
	v_mov_b32_e32 v144, 0                                      // 000000003740: 7F200280
	v_mov_b32_e32 v145, 0                                      // 000000003744: 7F220280
	v_mov_b32_e32 v146, 0                                      // 000000003748: 7F240280
	v_mov_b32_e32 v147, 0                                      // 00000000374C: 7F260280
	v_mov_b32_e32 v148, 0                                      // 000000003750: 7F280280
	v_mov_b32_e32 v149, 0                                      // 000000003754: 7F2A0280
	v_mov_b32_e32 v150, 0                                      // 000000003758: 7F2C0280
	v_mov_b32_e32 v151, 0                                      // 00000000375C: 7F2E0280
	v_mov_b32_e32 v152, 0                                      // 000000003760: 7F300280
	v_mov_b32_e32 v153, 0                                      // 000000003764: 7F320280
	v_mov_b32_e32 v154, 0                                      // 000000003768: 7F340280
	v_mov_b32_e32 v155, 0                                      // 00000000376C: 7F360280
	v_mov_b32_e32 v156, 0                                      // 000000003770: 7F380280
	v_mov_b32_e32 v157, 0                                      // 000000003774: 7F3A0280
	v_mov_b32_e32 v158, 0                                      // 000000003778: 7F3C0280
	v_mov_b32_e32 v159, 0                                      // 00000000377C: 7F3E0280
	v_mov_b32_e32 v160, 0                                      // 000000003780: 7F400280
	v_mov_b32_e32 v161, 0                                      // 000000003784: 7F420280
	v_mov_b32_e32 v162, 0                                      // 000000003788: 7F440280
	v_mov_b32_e32 v163, 0                                      // 00000000378C: 7F460280
	v_mov_b32_e32 v164, 0                                      // 000000003790: 7F480280
	v_mov_b32_e32 v165, 0                                      // 000000003794: 7F4A0280
	v_mov_b32_e32 v166, 0                                      // 000000003798: 7F4C0280
	v_mov_b32_e32 v167, 0                                      // 00000000379C: 7F4E0280
	v_mov_b32_e32 v168, 0                                      // 0000000037A0: 7F500280
	v_mov_b32_e32 v169, 0                                      // 0000000037A4: 7F520280
	v_mov_b32_e32 v170, 0                                      // 0000000037A8: 7F540280
	v_mov_b32_e32 v171, 0                                      // 0000000037AC: 7F560280
	v_mov_b32_e32 v172, 0                                      // 0000000037B0: 7F580280
	v_mov_b32_e32 v173, 0                                      // 0000000037B4: 7F5A0280
	v_mov_b32_e32 v174, 0                                      // 0000000037B8: 7F5C0280
	v_mov_b32_e32 v175, 0                                      // 0000000037BC: 7F5E0280
	v_mov_b32_e32 v176, 0                                      // 0000000037C0: 7F600280
	v_mov_b32_e32 v177, 0                                      // 0000000037C4: 7F620280
	v_mov_b32_e32 v178, 0                                      // 0000000037C8: 7F640280
	v_mov_b32_e32 v179, 0                                      // 0000000037CC: 7F660280
	v_mov_b32_e32 v180, 0                                      // 0000000037D0: 7F680280
	v_mov_b32_e32 v181, 0                                      // 0000000037D4: 7F6A0280
	v_mov_b32_e32 v182, 0                                      // 0000000037D8: 7F6C0280
	v_mov_b32_e32 v183, 0                                      // 0000000037DC: 7F6E0280
	v_mov_b32_e32 v184, 0                                      // 0000000037E0: 7F700280
	v_mov_b32_e32 v185, 0                                      // 0000000037E4: 7F720280
	v_mov_b32_e32 v186, 0                                      // 0000000037E8: 7F740280
	v_mov_b32_e32 v187, 0                                      // 0000000037EC: 7F760280
	v_mov_b32_e32 v188, 0                                      // 0000000037F0: 7F780280
	v_mov_b32_e32 v189, 0                                      // 0000000037F4: 7F7A0280
	v_mov_b32_e32 v190, 0                                      // 0000000037F8: 7F7C0280
	v_mov_b32_e32 v191, 0                                      // 0000000037FC: 7F7E0280
	v_lshrrev_b32_e32 v50, 4, v0                               // 000000003800: 20640084
	v_mul_i32_i24_e32 v3, 34, v50                              // 000000003804: 0C0664A2
	v_and_b32_e32 v50, 15, v0                                  // 000000003808: 2664008F
	v_mul_i32_i24_e32 v51, 2, v50                              // 00000000380C: 0C666482
	v_add_u32_e32 v3, v51, v3                                  // 000000003810: 68060733
	s_mul_i32 s60, s7, 0x88                                    // 000000003814: 923CFF07 00000088
	v_add_u32_e32 v3, s60, v3                                  // 00000000381C: 6806063C
	v_lshlrev_b32_e32 v3, 2, v3                                // 000000003820: 24060682
	v_lshrrev_b32_e32 v50, 1, v0                               // 000000003824: 20640081
	v_mul_i32_i24_e32 v4, 34, v50                              // 000000003828: 0C0864A2
	v_and_b32_e32 v51, 1, v0                                   // 00000000382C: 26660081
	v_add_u32_e32 v4, v51, v4                                  // 000000003830: 68080933
	s_mul_i32 s60, s7, 2                                       // 000000003834: 923C8207
	v_add_u32_e32 v4, s60, v4                                  // 000000003838: 6808083C
	v_lshlrev_b32_e32 v4, 2, v4                                // 00000000383C: 24080882
	s_waitcnt vmcnt(40)                                        // 000000003840: BF8C8F78
	s_barrier                                                  // 000000003844: BF8A0000
	ds_read_b128 v[192:195], v2                                // 000000003848: D9FE0000 C0000002
	ds_read_b128 v[196:199], v2 offset:64                      // 000000003850: D9FE0040 C4000002
	ds_read_b128 v[200:203], v2 offset:128                     // 000000003858: D9FE0080 C8000002
	ds_read_b128 v[204:207], v2 offset:192                     // 000000003860: D9FE00C0 CC000002
	ds_read_b128 v[208:211], v2 offset:1024                    // 000000003868: D9FE0400 D0000002
	ds_read_b128 v[212:215], v2 offset:1088                    // 000000003870: D9FE0440 D4000002
	ds_read_b128 v[216:219], v2 offset:1152                    // 000000003878: D9FE0480 D8000002
	ds_read_b128 v[220:223], v2 offset:1216                    // 000000003880: D9FE04C0 DC000002
	s_cmp_lt_i32 s7, 2                                         // 000000003888: BF048207
	s_cbranch_scc0 label_1188                                  // 00000000388C: BF840EE4

0000000000003890 <label_02A4>:
	s_waitcnt vmcnt(24) lgkmcnt(0)                             // 000000003890: BF8C4078
	s_barrier                                                  // 000000003894: BF8A0000
	v_mfma_i32_16x16x32_i8 v[128:131], a[0:1], v[192:193], v[128:131]// 000000003898: D3D70080 0E038100
	v_mfma_i32_16x16x32_i8 v[128:131], a[2:3], v[194:195], v[128:131]// 0000000038A0: D3D70080 0E038502
	buffer_load_dwordx4 a[128:131], v34, s[24:27], 0 offen     // 0000000038A8: E05C1000 80868022
	v_mfma_i32_16x16x32_i8 v[128:131], a[4:5], v[196:197], v[128:131]// 0000000038B0: D3D70080 0E038904
	v_mfma_i32_16x16x32_i8 v[128:131], a[6:7], v[198:199], v[128:131]// 0000000038B8: D3D70080 0E038D06
	buffer_load_dword v26, s[20:23], 0 offen lds               // 0000000038C0: E0511000 8005001A
	s_add_u32 m0, 0x100, s50                                   // 0000000038C8: 807C32FF 00000100
	v_mfma_i32_16x16x32_i8 v[128:131], a[8:9], v[200:201], v[128:131]// 0000000038D0: D3D70080 0E039108
	v_mfma_i32_16x16x32_i8 v[128:131], a[10:11], v[202:203], v[128:131]// 0000000038D8: D3D70080 0E03950A
	buffer_load_dwordx4 a[132:135], v34, s[24:27], 0 offen offset:1024// 0000000038E0: E05C1400 80868422
	v_mfma_i32_16x16x32_i8 v[128:131], a[12:13], v[204:205], v[128:131]// 0000000038E8: D3D70080 0E03990C
	v_mfma_i32_16x16x32_i8 v[128:131], a[14:15], v[206:207], v[128:131]// 0000000038F0: D3D70080 0E039D0E
	buffer_load_dword v27, s[20:23], 0 offen lds               // 0000000038F8: E0511000 8005001B
	s_add_u32 m0, 0x200, s50                                   // 000000003900: 807C32FF 00000200
	v_mfma_i32_16x16x32_i8 v[132:135], a[0:1], v[208:209], v[132:135]// 000000003908: D3D70084 0E13A100
	v_mfma_i32_16x16x32_i8 v[132:135], a[2:3], v[210:211], v[132:135]// 000000003910: D3D70084 0E13A502
	buffer_load_dwordx4 a[136:139], v34, s[24:27], 0 offen offset:2048// 000000003918: E05C1800 80868822
	v_mfma_i32_16x16x32_i8 v[132:135], a[4:5], v[212:213], v[132:135]// 000000003920: D3D70084 0E13A904
	v_mfma_i32_16x16x32_i8 v[132:135], a[6:7], v[214:215], v[132:135]// 000000003928: D3D70084 0E13AD06
	buffer_load_dword v28, s[20:23], 0 offen lds               // 000000003930: E0511000 8005001C
	s_add_u32 m0, 0x300, s50                                   // 000000003938: 807C32FF 00000300
	v_mfma_i32_16x16x32_i8 v[132:135], a[8:9], v[216:217], v[132:135]// 000000003940: D3D70084 0E13B108
	v_mfma_i32_16x16x32_i8 v[132:135], a[10:11], v[218:219], v[132:135]// 000000003948: D3D70084 0E13B50A
	buffer_load_dwordx4 a[140:143], v34, s[24:27], 0 offen offset:3072// 000000003950: E05C1C00 80868C22
	v_mfma_i32_16x16x32_i8 v[132:135], a[12:13], v[220:221], v[132:135]// 000000003958: D3D70084 0E13B90C
	v_mfma_i32_16x16x32_i8 v[132:135], a[14:15], v[222:223], v[132:135]// 000000003960: D3D70084 0E13BD0E
	buffer_load_dword v29, s[20:23], 0 offen lds               // 000000003968: E0511000 8005001D
	s_add_u32 m0, 0x400, s50                                   // 000000003970: 807C32FF 00000400
	v_mfma_i32_16x16x32_i8 v[136:139], a[16:17], v[192:193], v[136:139]// 000000003978: D3D70088 0E238110
	v_mfma_i32_16x16x32_i8 v[136:139], a[18:19], v[194:195], v[136:139]// 000000003980: D3D70088 0E238512
	buffer_load_dwordx4 a[144:147], v35, s[24:27], 0 offen     // 000000003988: E05C1000 80869023
	v_mfma_i32_16x16x32_i8 v[136:139], a[20:21], v[196:197], v[136:139]// 000000003990: D3D70088 0E238914
	v_mfma_i32_16x16x32_i8 v[136:139], a[22:23], v[198:199], v[136:139]// 000000003998: D3D70088 0E238D16
	buffer_load_dword v30, s[20:23], 0 offen lds               // 0000000039A0: E0511000 8005001E
	s_add_u32 m0, 0x500, s50                                   // 0000000039A8: 807C32FF 00000500
	v_mfma_i32_16x16x32_i8 v[136:139], a[24:25], v[200:201], v[136:139]// 0000000039B0: D3D70088 0E239118
	v_mfma_i32_16x16x32_i8 v[136:139], a[26:27], v[202:203], v[136:139]// 0000000039B8: D3D70088 0E23951A
	buffer_load_dwordx4 a[148:151], v35, s[24:27], 0 offen offset:1024// 0000000039C0: E05C1400 80869423
	v_mfma_i32_16x16x32_i8 v[136:139], a[28:29], v[204:205], v[136:139]// 0000000039C8: D3D70088 0E23991C
	v_mfma_i32_16x16x32_i8 v[136:139], a[30:31], v[206:207], v[136:139]// 0000000039D0: D3D70088 0E239D1E
	buffer_load_dword v31, s[20:23], 0 offen lds               // 0000000039D8: E0511000 8005001F
	s_add_u32 m0, 0x600, s50                                   // 0000000039E0: 807C32FF 00000600
	v_mfma_i32_16x16x32_i8 v[140:143], a[16:17], v[208:209], v[140:143]// 0000000039E8: D3D7008C 0E33A110
	v_mfma_i32_16x16x32_i8 v[140:143], a[18:19], v[210:211], v[140:143]// 0000000039F0: D3D7008C 0E33A512
	buffer_load_dwordx4 a[152:155], v35, s[24:27], 0 offen offset:2048// 0000000039F8: E05C1800 80869823
	v_mfma_i32_16x16x32_i8 v[140:143], a[20:21], v[212:213], v[140:143]// 000000003A00: D3D7008C 0E33A914
	v_mfma_i32_16x16x32_i8 v[140:143], a[22:23], v[214:215], v[140:143]// 000000003A08: D3D7008C 0E33AD16
	buffer_load_dword v32, s[20:23], 0 offen lds               // 000000003A10: E0511000 80050020
	s_add_u32 m0, 0x700, s50                                   // 000000003A18: 807C32FF 00000700
	v_mfma_i32_16x16x32_i8 v[140:143], a[24:25], v[216:217], v[140:143]// 000000003A20: D3D7008C 0E33B118
	v_mfma_i32_16x16x32_i8 v[140:143], a[26:27], v[218:219], v[140:143]// 000000003A28: D3D7008C 0E33B51A
	buffer_load_dwordx4 a[156:159], v35, s[24:27], 0 offen offset:3072// 000000003A30: E05C1C00 80869C23
	v_mfma_i32_16x16x32_i8 v[140:143], a[28:29], v[220:221], v[140:143]// 000000003A38: D3D7008C 0E33B91C
	v_mfma_i32_16x16x32_i8 v[140:143], a[30:31], v[222:223], v[140:143]// 000000003A40: D3D7008C 0E33BD1E
	buffer_load_dword v33, s[20:23], 0 offen lds               // 000000003A48: E0511000 80050021
	s_add_u32 m0, 0, s51                                       // 000000003A50: 807C3380
	s_waitcnt vmcnt(36)                                        // 000000003A54: BF8C8F74
	v_mfma_i32_16x16x32_i8 v[144:147], a[32:33], v[192:193], v[144:147]// 000000003A58: D3D70090 0E438120
	v_mfma_i32_16x16x32_i8 v[144:147], a[34:35], v[194:195], v[144:147]// 000000003A60: D3D70090 0E438522
	buffer_load_dwordx4 a[160:163], v36, s[24:27], 0 offen     // 000000003A68: E05C1000 8086A024
	v_mfma_i32_16x16x32_i8 v[144:147], a[36:37], v[196:197], v[144:147]// 000000003A70: D3D70090 0E438924
	v_mfma_i32_16x16x32_i8 v[144:147], a[38:39], v[198:199], v[144:147]// 000000003A78: D3D70090 0E438D26
	ds_read_b128 v[224:227], v2 offset:8320                    // 000000003A80: D9FE2080 E0000002
	v_mfma_i32_16x16x32_i8 v[144:147], a[40:41], v[200:201], v[144:147]// 000000003A88: D3D70090 0E439128
	v_mfma_i32_16x16x32_i8 v[144:147], a[42:43], v[202:203], v[144:147]// 000000003A90: D3D70090 0E43952A
	buffer_load_dwordx4 a[164:167], v36, s[24:27], 0 offen offset:1024// 000000003A98: E05C1400 8086A424
	v_mfma_i32_16x16x32_i8 v[144:147], a[44:45], v[204:205], v[144:147]// 000000003AA0: D3D70090 0E43992C
	v_mfma_i32_16x16x32_i8 v[144:147], a[46:47], v[206:207], v[144:147]// 000000003AA8: D3D70090 0E439D2E
	ds_read_b128 v[228:231], v2 offset:8384                    // 000000003AB0: D9FE20C0 E4000002
	v_mfma_i32_16x16x32_i8 v[148:151], a[32:33], v[208:209], v[148:151]// 000000003AB8: D3D70094 0E53A120
	v_mfma_i32_16x16x32_i8 v[148:151], a[34:35], v[210:211], v[148:151]// 000000003AC0: D3D70094 0E53A522
	buffer_load_dwordx4 a[168:171], v36, s[24:27], 0 offen offset:2048// 000000003AC8: E05C1800 8086A824
	v_mfma_i32_16x16x32_i8 v[148:151], a[36:37], v[212:213], v[148:151]// 000000003AD0: D3D70094 0E53A924
	v_mfma_i32_16x16x32_i8 v[148:151], a[38:39], v[214:215], v[148:151]// 000000003AD8: D3D70094 0E53AD26
	ds_read_b128 v[232:235], v2 offset:8448                    // 000000003AE0: D9FE2100 E8000002
	v_mfma_i32_16x16x32_i8 v[148:151], a[40:41], v[216:217], v[148:151]// 000000003AE8: D3D70094 0E53B128
	v_mfma_i32_16x16x32_i8 v[148:151], a[42:43], v[218:219], v[148:151]// 000000003AF0: D3D70094 0E53B52A
	buffer_load_dwordx4 a[172:175], v36, s[24:27], 0 offen offset:3072// 000000003AF8: E05C1C00 8086AC24
	v_mfma_i32_16x16x32_i8 v[148:151], a[44:45], v[220:221], v[148:151]// 000000003B00: D3D70094 0E53B92C
	v_mfma_i32_16x16x32_i8 v[148:151], a[46:47], v[222:223], v[148:151]// 000000003B08: D3D70094 0E53BD2E
	ds_read_b128 v[236:239], v2 offset:8512                    // 000000003B10: D9FE2140 EC000002
	s_waitcnt vmcnt(36)                                        // 000000003B18: BF8C8F74
	v_mfma_i32_16x16x32_i8 v[152:155], a[48:49], v[192:193], v[152:155]// 000000003B1C: D3D70098 0E638130
	v_mfma_i32_16x16x32_i8 v[152:155], a[50:51], v[194:195], v[152:155]// 000000003B24: D3D70098 0E638532
	buffer_load_dwordx4 a[176:179], v37, s[24:27], 0 offen     // 000000003B2C: E05C1000 8086B025
	v_mfma_i32_16x16x32_i8 v[152:155], a[52:53], v[196:197], v[152:155]// 000000003B34: D3D70098 0E638934
	v_mfma_i32_16x16x32_i8 v[152:155], a[54:55], v[198:199], v[152:155]// 000000003B3C: D3D70098 0E638D36
	ds_read_b128 v[240:243], v2 offset:9344                    // 000000003B44: D9FE2480 F0000002
	v_mfma_i32_16x16x32_i8 v[152:155], a[56:57], v[200:201], v[152:155]// 000000003B4C: D3D70098 0E639138
	v_mfma_i32_16x16x32_i8 v[152:155], a[58:59], v[202:203], v[152:155]// 000000003B54: D3D70098 0E63953A
	buffer_load_dwordx4 a[180:183], v37, s[24:27], 0 offen offset:1024// 000000003B5C: E05C1400 8086B425
	v_mfma_i32_16x16x32_i8 v[152:155], a[60:61], v[204:205], v[152:155]// 000000003B64: D3D70098 0E63993C
	v_mfma_i32_16x16x32_i8 v[152:155], a[62:63], v[206:207], v[152:155]// 000000003B6C: D3D70098 0E639D3E
	ds_read_b128 v[244:247], v2 offset:9408                    // 000000003B74: D9FE24C0 F4000002
	v_mfma_i32_16x16x32_i8 v[156:159], a[48:49], v[208:209], v[156:159]// 000000003B7C: D3D7009C 0E73A130
	v_mfma_i32_16x16x32_i8 v[156:159], a[50:51], v[210:211], v[156:159]// 000000003B84: D3D7009C 0E73A532
	buffer_load_dwordx4 a[184:187], v37, s[24:27], 0 offen offset:2048// 000000003B8C: E05C1800 8086B825
	v_mfma_i32_16x16x32_i8 v[156:159], a[52:53], v[212:213], v[156:159]// 000000003B94: D3D7009C 0E73A934
	v_mfma_i32_16x16x32_i8 v[156:159], a[54:55], v[214:215], v[156:159]// 000000003B9C: D3D7009C 0E73AD36
	ds_read_b128 v[248:251], v2 offset:9472                    // 000000003BA4: D9FE2500 F8000002
	v_mfma_i32_16x16x32_i8 v[156:159], a[56:57], v[216:217], v[156:159]// 000000003BAC: D3D7009C 0E73B138
	v_mfma_i32_16x16x32_i8 v[156:159], a[58:59], v[218:219], v[156:159]// 000000003BB4: D3D7009C 0E73B53A
	buffer_load_dwordx4 a[188:191], v37, s[24:27], 0 offen offset:3072// 000000003BBC: E05C1C00 8086BC25
	v_mfma_i32_16x16x32_i8 v[156:159], a[60:61], v[220:221], v[156:159]// 000000003BC4: D3D7009C 0E73B93C
	v_mfma_i32_16x16x32_i8 v[156:159], a[62:63], v[222:223], v[156:159]// 000000003BCC: D3D7009C 0E73BD3E
	ds_read_b128 v[252:255], v2 offset:9536                    // 000000003BD4: D9FE2540 FC000002
	s_waitcnt vmcnt(36)                                        // 000000003BDC: BF8C8F74
	v_mfma_i32_16x16x32_i8 v[160:163], a[64:65], v[192:193], v[160:163]// 000000003BE0: D3D700A0 0E838140
	v_mfma_i32_16x16x32_i8 v[160:163], a[66:67], v[194:195], v[160:163]// 000000003BE8: D3D700A0 0E838542
	buffer_load_dwordx4 a[192:195], v38, s[24:27], 0 offen     // 000000003BF0: E05C1000 8086C026
	v_mfma_i32_16x16x32_i8 v[160:163], a[68:69], v[196:197], v[160:163]// 000000003BF8: D3D700A0 0E838944
	v_mfma_i32_16x16x32_i8 v[160:163], a[70:71], v[198:199], v[160:163]// 000000003C00: D3D700A0 0E838D46
	v_mfma_i32_16x16x32_i8 v[160:163], a[72:73], v[200:201], v[160:163]// 000000003C08: D3D700A0 0E839148
	v_mfma_i32_16x16x32_i8 v[160:163], a[74:75], v[202:203], v[160:163]// 000000003C10: D3D700A0 0E83954A
	buffer_load_dwordx4 a[196:199], v38, s[24:27], 0 offen offset:1024// 000000003C18: E05C1400 8086C426
	v_mfma_i32_16x16x32_i8 v[160:163], a[76:77], v[204:205], v[160:163]// 000000003C20: D3D700A0 0E83994C
	v_mfma_i32_16x16x32_i8 v[160:163], a[78:79], v[206:207], v[160:163]// 000000003C28: D3D700A0 0E839D4E
	v_mfma_i32_16x16x32_i8 v[164:167], a[64:65], v[208:209], v[164:167]// 000000003C30: D3D700A4 0E93A140
	v_mfma_i32_16x16x32_i8 v[164:167], a[66:67], v[210:211], v[164:167]// 000000003C38: D3D700A4 0E93A542
	buffer_load_dwordx4 a[200:203], v38, s[24:27], 0 offen offset:2048// 000000003C40: E05C1800 8086C826
	v_mfma_i32_16x16x32_i8 v[164:167], a[68:69], v[212:213], v[164:167]// 000000003C48: D3D700A4 0E93A944
	v_mfma_i32_16x16x32_i8 v[164:167], a[70:71], v[214:215], v[164:167]// 000000003C50: D3D700A4 0E93AD46
	v_mfma_i32_16x16x32_i8 v[164:167], a[72:73], v[216:217], v[164:167]// 000000003C58: D3D700A4 0E93B148
	v_mfma_i32_16x16x32_i8 v[164:167], a[74:75], v[218:219], v[164:167]// 000000003C60: D3D700A4 0E93B54A
	buffer_load_dwordx4 a[204:207], v38, s[24:27], 0 offen offset:3072// 000000003C68: E05C1C00 8086CC26
	v_mfma_i32_16x16x32_i8 v[164:167], a[76:77], v[220:221], v[164:167]// 000000003C70: D3D700A4 0E93B94C
	v_mfma_i32_16x16x32_i8 v[164:167], a[78:79], v[222:223], v[164:167]// 000000003C78: D3D700A4 0E93BD4E
	s_waitcnt vmcnt(36)                                        // 000000003C80: BF8C8F74
	v_mfma_i32_16x16x32_i8 v[168:171], a[80:81], v[192:193], v[168:171]// 000000003C84: D3D700A8 0EA38150
	v_mfma_i32_16x16x32_i8 v[168:171], a[82:83], v[194:195], v[168:171]// 000000003C8C: D3D700A8 0EA38552
	buffer_load_dwordx4 a[208:211], v39, s[24:27], 0 offen     // 000000003C94: E05C1000 8086D027
	v_mfma_i32_16x16x32_i8 v[168:171], a[84:85], v[196:197], v[168:171]// 000000003C9C: D3D700A8 0EA38954
	v_mfma_i32_16x16x32_i8 v[168:171], a[86:87], v[198:199], v[168:171]// 000000003CA4: D3D700A8 0EA38D56
	v_mfma_i32_16x16x32_i8 v[168:171], a[88:89], v[200:201], v[168:171]// 000000003CAC: D3D700A8 0EA39158
	v_mfma_i32_16x16x32_i8 v[168:171], a[90:91], v[202:203], v[168:171]// 000000003CB4: D3D700A8 0EA3955A
	buffer_load_dwordx4 a[212:215], v39, s[24:27], 0 offen offset:1024// 000000003CBC: E05C1400 8086D427
	v_mfma_i32_16x16x32_i8 v[168:171], a[92:93], v[204:205], v[168:171]// 000000003CC4: D3D700A8 0EA3995C
	v_mfma_i32_16x16x32_i8 v[168:171], a[94:95], v[206:207], v[168:171]// 000000003CCC: D3D700A8 0EA39D5E
	v_mfma_i32_16x16x32_i8 v[172:175], a[80:81], v[208:209], v[172:175]// 000000003CD4: D3D700AC 0EB3A150
	v_mfma_i32_16x16x32_i8 v[172:175], a[82:83], v[210:211], v[172:175]// 000000003CDC: D3D700AC 0EB3A552
	buffer_load_dwordx4 a[216:219], v39, s[24:27], 0 offen offset:2048// 000000003CE4: E05C1800 8086D827
	v_mfma_i32_16x16x32_i8 v[172:175], a[84:85], v[212:213], v[172:175]// 000000003CEC: D3D700AC 0EB3A954
	v_mfma_i32_16x16x32_i8 v[172:175], a[86:87], v[214:215], v[172:175]// 000000003CF4: D3D700AC 0EB3AD56
	v_mfma_i32_16x16x32_i8 v[172:175], a[88:89], v[216:217], v[172:175]// 000000003CFC: D3D700AC 0EB3B158
	v_mfma_i32_16x16x32_i8 v[172:175], a[90:91], v[218:219], v[172:175]// 000000003D04: D3D700AC 0EB3B55A
	buffer_load_dwordx4 a[220:223], v39, s[24:27], 0 offen offset:3072// 000000003D0C: E05C1C00 8086DC27
	v_mfma_i32_16x16x32_i8 v[172:175], a[92:93], v[220:221], v[172:175]// 000000003D14: D3D700AC 0EB3B95C
	v_mfma_i32_16x16x32_i8 v[172:175], a[94:95], v[222:223], v[172:175]// 000000003D1C: D3D700AC 0EB3BD5E
	s_waitcnt vmcnt(36)                                        // 000000003D24: BF8C8F74
	v_mfma_i32_16x16x32_i8 v[176:179], a[96:97], v[192:193], v[176:179]// 000000003D28: D3D700B0 0EC38160
	v_mfma_i32_16x16x32_i8 v[176:179], a[98:99], v[194:195], v[176:179]// 000000003D30: D3D700B0 0EC38562
	buffer_load_dwordx4 a[224:227], v40, s[24:27], 0 offen     // 000000003D38: E05C1000 8086E028
	v_mfma_i32_16x16x32_i8 v[176:179], a[100:101], v[196:197], v[176:179]// 000000003D40: D3D700B0 0EC38964
	v_mfma_i32_16x16x32_i8 v[176:179], a[102:103], v[198:199], v[176:179]// 000000003D48: D3D700B0 0EC38D66
	v_mfma_i32_16x16x32_i8 v[176:179], a[104:105], v[200:201], v[176:179]// 000000003D50: D3D700B0 0EC39168
	v_mfma_i32_16x16x32_i8 v[176:179], a[106:107], v[202:203], v[176:179]// 000000003D58: D3D700B0 0EC3956A
	buffer_load_dwordx4 a[228:231], v40, s[24:27], 0 offen offset:1024// 000000003D60: E05C1400 8086E428
	v_mfma_i32_16x16x32_i8 v[176:179], a[108:109], v[204:205], v[176:179]// 000000003D68: D3D700B0 0EC3996C
	v_mfma_i32_16x16x32_i8 v[176:179], a[110:111], v[206:207], v[176:179]// 000000003D70: D3D700B0 0EC39D6E
	v_mfma_i32_16x16x32_i8 v[180:183], a[96:97], v[208:209], v[180:183]// 000000003D78: D3D700B4 0ED3A160
	v_mfma_i32_16x16x32_i8 v[180:183], a[98:99], v[210:211], v[180:183]// 000000003D80: D3D700B4 0ED3A562
	buffer_load_dwordx4 a[232:235], v40, s[24:27], 0 offen offset:2048// 000000003D88: E05C1800 8086E828
	v_mfma_i32_16x16x32_i8 v[180:183], a[100:101], v[212:213], v[180:183]// 000000003D90: D3D700B4 0ED3A964
	v_mfma_i32_16x16x32_i8 v[180:183], a[102:103], v[214:215], v[180:183]// 000000003D98: D3D700B4 0ED3AD66
	v_mfma_i32_16x16x32_i8 v[180:183], a[104:105], v[216:217], v[180:183]// 000000003DA0: D3D700B4 0ED3B168
	v_mfma_i32_16x16x32_i8 v[180:183], a[106:107], v[218:219], v[180:183]// 000000003DA8: D3D700B4 0ED3B56A
	buffer_load_dwordx4 a[236:239], v40, s[24:27], 0 offen offset:3072// 000000003DB0: E05C1C00 8086EC28
	v_mfma_i32_16x16x32_i8 v[180:183], a[108:109], v[220:221], v[180:183]// 000000003DB8: D3D700B4 0ED3B96C
	v_mfma_i32_16x16x32_i8 v[180:183], a[110:111], v[222:223], v[180:183]// 000000003DC0: D3D700B4 0ED3BD6E
	s_waitcnt vmcnt(36)                                        // 000000003DC8: BF8C8F74
	v_mfma_i32_16x16x32_i8 v[184:187], a[112:113], v[192:193], v[184:187]// 000000003DCC: D3D700B8 0EE38170
	v_mfma_i32_16x16x32_i8 v[184:187], a[114:115], v[194:195], v[184:187]// 000000003DD4: D3D700B8 0EE38572
	buffer_load_dwordx4 a[240:243], v41, s[24:27], 0 offen     // 000000003DDC: E05C1000 8086F029
	v_mfma_i32_16x16x32_i8 v[184:187], a[116:117], v[196:197], v[184:187]// 000000003DE4: D3D700B8 0EE38974
	v_mfma_i32_16x16x32_i8 v[184:187], a[118:119], v[198:199], v[184:187]// 000000003DEC: D3D700B8 0EE38D76
	v_mfma_i32_16x16x32_i8 v[184:187], a[120:121], v[200:201], v[184:187]// 000000003DF4: D3D700B8 0EE39178
	v_mfma_i32_16x16x32_i8 v[184:187], a[122:123], v[202:203], v[184:187]// 000000003DFC: D3D700B8 0EE3957A
	buffer_load_dwordx4 a[244:247], v41, s[24:27], 0 offen offset:1024// 000000003E04: E05C1400 8086F429
	v_mfma_i32_16x16x32_i8 v[184:187], a[124:125], v[204:205], v[184:187]// 000000003E0C: D3D700B8 0EE3997C
	v_mfma_i32_16x16x32_i8 v[184:187], a[126:127], v[206:207], v[184:187]// 000000003E14: D3D700B8 0EE39D7E
	v_mfma_i32_16x16x32_i8 v[188:191], a[112:113], v[208:209], v[188:191]// 000000003E1C: D3D700BC 0EF3A170
	v_mfma_i32_16x16x32_i8 v[188:191], a[114:115], v[210:211], v[188:191]// 000000003E24: D3D700BC 0EF3A572
	buffer_load_dwordx4 a[248:251], v41, s[24:27], 0 offen offset:2048// 000000003E2C: E05C1800 8086F829
	v_mfma_i32_16x16x32_i8 v[188:191], a[116:117], v[212:213], v[188:191]// 000000003E34: D3D700BC 0EF3A974
	v_mfma_i32_16x16x32_i8 v[188:191], a[118:119], v[214:215], v[188:191]// 000000003E3C: D3D700BC 0EF3AD76
	v_mfma_i32_16x16x32_i8 v[188:191], a[120:121], v[216:217], v[188:191]// 000000003E44: D3D700BC 0EF3B178
	v_mfma_i32_16x16x32_i8 v[188:191], a[122:123], v[218:219], v[188:191]// 000000003E4C: D3D700BC 0EF3B57A
	buffer_load_dwordx4 a[252:255], v41, s[24:27], 0 offen offset:3072// 000000003E54: E05C1C00 8086FC29
	v_mfma_i32_16x16x32_i8 v[188:191], a[124:125], v[220:221], v[188:191]// 000000003E5C: D3D700BC 0EF3B97C
	v_mfma_i32_16x16x32_i8 v[188:191], a[126:127], v[222:223], v[188:191]// 000000003E64: D3D700BC 0EF3BD7E
	s_add_u32 s60, 0x300, s80                                  // 000000003E6C: 803C50FF 00000300
	s_cmp_lt_u32 s60, s81                                      // 000000003E74: BF0A513C
	s_cselect_b32 s57, s57, 0                                  // 000000003E78: 85398039
	s_add_u32 s60, 0x200, s80                                  // 000000003E7C: 803C50FF 00000200
	s_cmp_lt_u32 s60, s81                                      // 000000003E84: BF0A513C
	s_cselect_b32 s58, s58, 0                                  // 000000003E88: 853A803A
	s_add_u32 s20, s57, s20                                    // 000000003E8C: 80141439
	s_addc_u32 s21, 0, s21                                     // 000000003E90: 82151580
	s_add_u32 s24, s58, s24                                    // 000000003E94: 8018183A
	s_addc_u32 s25, 0, s25                                     // 000000003E98: 82191980
	s_addk_i32 s80, 0x100                                      // 000000003E9C: B7500100
	s_cmp_lt_i32 s80, s81                                      // 000000003EA0: BF045150
	s_cbranch_scc0 label_05B1                                  // 000000003EA4: BF840187
	s_waitcnt vmcnt(24) lgkmcnt(0)                             // 000000003EA8: BF8C4078
	s_barrier                                                  // 000000003EAC: BF8A0000
	v_mfma_i32_16x16x32_i8 v[128:131], a[128:129], v[224:225], v[128:131]// 000000003EB0: D3D70080 0E03C180
	v_mfma_i32_16x16x32_i8 v[128:131], a[130:131], v[226:227], v[128:131]// 000000003EB8: D3D70080 0E03C582
	buffer_load_dwordx4 a[0:3], v34, s[24:27], 0 offen         // 000000003EC0: E05C1000 80860022
	v_mfma_i32_16x16x32_i8 v[128:131], a[132:133], v[228:229], v[128:131]// 000000003EC8: D3D70080 0E03C984
	v_mfma_i32_16x16x32_i8 v[128:131], a[134:135], v[230:231], v[128:131]// 000000003ED0: D3D70080 0E03CD86
	buffer_load_dword v26, s[20:23], 0 offen lds               // 000000003ED8: E0511000 8005001A
	s_add_u32 m0, 0x100, s51                                   // 000000003EE0: 807C33FF 00000100
	v_mfma_i32_16x16x32_i8 v[128:131], a[136:137], v[232:233], v[128:131]// 000000003EE8: D3D70080 0E03D188
	v_mfma_i32_16x16x32_i8 v[128:131], a[138:139], v[234:235], v[128:131]// 000000003EF0: D3D70080 0E03D58A
	buffer_load_dwordx4 a[4:7], v34, s[24:27], 0 offen offset:1024// 000000003EF8: E05C1400 80860422
	v_mfma_i32_16x16x32_i8 v[128:131], a[140:141], v[236:237], v[128:131]// 000000003F00: D3D70080 0E03D98C
	v_mfma_i32_16x16x32_i8 v[128:131], a[142:143], v[238:239], v[128:131]// 000000003F08: D3D70080 0E03DD8E
	buffer_load_dword v27, s[20:23], 0 offen lds               // 000000003F10: E0511000 8005001B
	s_add_u32 m0, 0x200, s51                                   // 000000003F18: 807C33FF 00000200
	v_mfma_i32_16x16x32_i8 v[132:135], a[128:129], v[240:241], v[132:135]// 000000003F20: D3D70084 0E13E180
	v_mfma_i32_16x16x32_i8 v[132:135], a[130:131], v[242:243], v[132:135]// 000000003F28: D3D70084 0E13E582
	buffer_load_dwordx4 a[8:11], v34, s[24:27], 0 offen offset:2048// 000000003F30: E05C1800 80860822
	v_mfma_i32_16x16x32_i8 v[132:135], a[132:133], v[244:245], v[132:135]// 000000003F38: D3D70084 0E13E984
	v_mfma_i32_16x16x32_i8 v[132:135], a[134:135], v[246:247], v[132:135]// 000000003F40: D3D70084 0E13ED86
	buffer_load_dword v28, s[20:23], 0 offen lds               // 000000003F48: E0511000 8005001C
	s_add_u32 m0, 0x300, s51                                   // 000000003F50: 807C33FF 00000300
	v_mfma_i32_16x16x32_i8 v[132:135], a[136:137], v[248:249], v[132:135]// 000000003F58: D3D70084 0E13F188
	v_mfma_i32_16x16x32_i8 v[132:135], a[138:139], v[250:251], v[132:135]// 000000003F60: D3D70084 0E13F58A
	buffer_load_dwordx4 a[12:15], v34, s[24:27], 0 offen offset:3072// 000000003F68: E05C1C00 80860C22
	v_mfma_i32_16x16x32_i8 v[132:135], a[140:141], v[252:253], v[132:135]// 000000003F70: D3D70084 0E13F98C
	v_mfma_i32_16x16x32_i8 v[132:135], a[142:143], v[254:255], v[132:135]// 000000003F78: D3D70084 0E13FD8E
	buffer_load_dword v29, s[20:23], 0 offen lds               // 000000003F80: E0511000 8005001D
	s_add_u32 m0, 0x400, s51                                   // 000000003F88: 807C33FF 00000400
	v_mfma_i32_16x16x32_i8 v[136:139], a[144:145], v[224:225], v[136:139]// 000000003F90: D3D70088 0E23C190
	v_mfma_i32_16x16x32_i8 v[136:139], a[146:147], v[226:227], v[136:139]// 000000003F98: D3D70088 0E23C592
	buffer_load_dwordx4 a[16:19], v35, s[24:27], 0 offen       // 000000003FA0: E05C1000 80861023
	v_mfma_i32_16x16x32_i8 v[136:139], a[148:149], v[228:229], v[136:139]// 000000003FA8: D3D70088 0E23C994
	v_mfma_i32_16x16x32_i8 v[136:139], a[150:151], v[230:231], v[136:139]// 000000003FB0: D3D70088 0E23CD96
	buffer_load_dword v30, s[20:23], 0 offen lds               // 000000003FB8: E0511000 8005001E
	s_add_u32 m0, 0x500, s51                                   // 000000003FC0: 807C33FF 00000500
	v_mfma_i32_16x16x32_i8 v[136:139], a[152:153], v[232:233], v[136:139]// 000000003FC8: D3D70088 0E23D198
	v_mfma_i32_16x16x32_i8 v[136:139], a[154:155], v[234:235], v[136:139]// 000000003FD0: D3D70088 0E23D59A
	buffer_load_dwordx4 a[20:23], v35, s[24:27], 0 offen offset:1024// 000000003FD8: E05C1400 80861423
	v_mfma_i32_16x16x32_i8 v[136:139], a[156:157], v[236:237], v[136:139]// 000000003FE0: D3D70088 0E23D99C
	v_mfma_i32_16x16x32_i8 v[136:139], a[158:159], v[238:239], v[136:139]// 000000003FE8: D3D70088 0E23DD9E
	buffer_load_dword v31, s[20:23], 0 offen lds               // 000000003FF0: E0511000 8005001F
	s_add_u32 m0, 0x600, s51                                   // 000000003FF8: 807C33FF 00000600
	v_mfma_i32_16x16x32_i8 v[140:143], a[144:145], v[240:241], v[140:143]// 000000004000: D3D7008C 0E33E190
	v_mfma_i32_16x16x32_i8 v[140:143], a[146:147], v[242:243], v[140:143]// 000000004008: D3D7008C 0E33E592
	buffer_load_dwordx4 a[24:27], v35, s[24:27], 0 offen offset:2048// 000000004010: E05C1800 80861823
	v_mfma_i32_16x16x32_i8 v[140:143], a[148:149], v[244:245], v[140:143]// 000000004018: D3D7008C 0E33E994
	v_mfma_i32_16x16x32_i8 v[140:143], a[150:151], v[246:247], v[140:143]// 000000004020: D3D7008C 0E33ED96
	buffer_load_dword v32, s[20:23], 0 offen lds               // 000000004028: E0511000 80050020
	s_add_u32 m0, 0x700, s51                                   // 000000004030: 807C33FF 00000700
	v_mfma_i32_16x16x32_i8 v[140:143], a[152:153], v[248:249], v[140:143]// 000000004038: D3D7008C 0E33F198
	v_mfma_i32_16x16x32_i8 v[140:143], a[154:155], v[250:251], v[140:143]// 000000004040: D3D7008C 0E33F59A
	buffer_load_dwordx4 a[28:31], v35, s[24:27], 0 offen offset:3072// 000000004048: E05C1C00 80861C23
	v_mfma_i32_16x16x32_i8 v[140:143], a[156:157], v[252:253], v[140:143]// 000000004050: D3D7008C 0E33F99C
	v_mfma_i32_16x16x32_i8 v[140:143], a[158:159], v[254:255], v[140:143]// 000000004058: D3D7008C 0E33FD9E
	buffer_load_dword v33, s[20:23], 0 offen lds               // 000000004060: E0511000 80050021
	s_add_u32 m0, 0, s50                                       // 000000004068: 807C3280
	s_waitcnt vmcnt(36)                                        // 00000000406C: BF8C8F74
	v_mfma_i32_16x16x32_i8 v[144:147], a[160:161], v[224:225], v[144:147]// 000000004070: D3D70090 0E43C1A0
	v_mfma_i32_16x16x32_i8 v[144:147], a[162:163], v[226:227], v[144:147]// 000000004078: D3D70090 0E43C5A2
	buffer_load_dwordx4 a[32:35], v36, s[24:27], 0 offen       // 000000004080: E05C1000 80862024
	v_mfma_i32_16x16x32_i8 v[144:147], a[164:165], v[228:229], v[144:147]// 000000004088: D3D70090 0E43C9A4
	v_mfma_i32_16x16x32_i8 v[144:147], a[166:167], v[230:231], v[144:147]// 000000004090: D3D70090 0E43CDA6
	ds_read_b128 v[192:195], v2                                // 000000004098: D9FE0000 C0000002
	v_mfma_i32_16x16x32_i8 v[144:147], a[168:169], v[232:233], v[144:147]// 0000000040A0: D3D70090 0E43D1A8
	v_mfma_i32_16x16x32_i8 v[144:147], a[170:171], v[234:235], v[144:147]// 0000000040A8: D3D70090 0E43D5AA
	buffer_load_dwordx4 a[36:39], v36, s[24:27], 0 offen offset:1024// 0000000040B0: E05C1400 80862424
	v_mfma_i32_16x16x32_i8 v[144:147], a[172:173], v[236:237], v[144:147]// 0000000040B8: D3D70090 0E43D9AC
	v_mfma_i32_16x16x32_i8 v[144:147], a[174:175], v[238:239], v[144:147]// 0000000040C0: D3D70090 0E43DDAE
	ds_read_b128 v[196:199], v2 offset:64                      // 0000000040C8: D9FE0040 C4000002
	v_mfma_i32_16x16x32_i8 v[148:151], a[160:161], v[240:241], v[148:151]// 0000000040D0: D3D70094 0E53E1A0
	v_mfma_i32_16x16x32_i8 v[148:151], a[162:163], v[242:243], v[148:151]// 0000000040D8: D3D70094 0E53E5A2
	buffer_load_dwordx4 a[40:43], v36, s[24:27], 0 offen offset:2048// 0000000040E0: E05C1800 80862824
	v_mfma_i32_16x16x32_i8 v[148:151], a[164:165], v[244:245], v[148:151]// 0000000040E8: D3D70094 0E53E9A4
	v_mfma_i32_16x16x32_i8 v[148:151], a[166:167], v[246:247], v[148:151]// 0000000040F0: D3D70094 0E53EDA6
	ds_read_b128 v[200:203], v2 offset:128                     // 0000000040F8: D9FE0080 C8000002
	v_mfma_i32_16x16x32_i8 v[148:151], a[168:169], v[248:249], v[148:151]// 000000004100: D3D70094 0E53F1A8
	v_mfma_i32_16x16x32_i8 v[148:151], a[170:171], v[250:251], v[148:151]// 000000004108: D3D70094 0E53F5AA
	buffer_load_dwordx4 a[44:47], v36, s[24:27], 0 offen offset:3072// 000000004110: E05C1C00 80862C24
	v_mfma_i32_16x16x32_i8 v[148:151], a[172:173], v[252:253], v[148:151]// 000000004118: D3D70094 0E53F9AC
	v_mfma_i32_16x16x32_i8 v[148:151], a[174:175], v[254:255], v[148:151]// 000000004120: D3D70094 0E53FDAE
	ds_read_b128 v[204:207], v2 offset:192                     // 000000004128: D9FE00C0 CC000002
	s_waitcnt vmcnt(36)                                        // 000000004130: BF8C8F74
	v_mfma_i32_16x16x32_i8 v[152:155], a[176:177], v[224:225], v[152:155]// 000000004134: D3D70098 0E63C1B0
	v_mfma_i32_16x16x32_i8 v[152:155], a[178:179], v[226:227], v[152:155]// 00000000413C: D3D70098 0E63C5B2
	buffer_load_dwordx4 a[48:51], v37, s[24:27], 0 offen       // 000000004144: E05C1000 80863025
	v_mfma_i32_16x16x32_i8 v[152:155], a[180:181], v[228:229], v[152:155]// 00000000414C: D3D70098 0E63C9B4
	v_mfma_i32_16x16x32_i8 v[152:155], a[182:183], v[230:231], v[152:155]// 000000004154: D3D70098 0E63CDB6
	ds_read_b128 v[208:211], v2 offset:1024                    // 00000000415C: D9FE0400 D0000002
	v_mfma_i32_16x16x32_i8 v[152:155], a[184:185], v[232:233], v[152:155]// 000000004164: D3D70098 0E63D1B8
	v_mfma_i32_16x16x32_i8 v[152:155], a[186:187], v[234:235], v[152:155]// 00000000416C: D3D70098 0E63D5BA
	buffer_load_dwordx4 a[52:55], v37, s[24:27], 0 offen offset:1024// 000000004174: E05C1400 80863425
	v_mfma_i32_16x16x32_i8 v[152:155], a[188:189], v[236:237], v[152:155]// 00000000417C: D3D70098 0E63D9BC
	v_mfma_i32_16x16x32_i8 v[152:155], a[190:191], v[238:239], v[152:155]// 000000004184: D3D70098 0E63DDBE
	ds_read_b128 v[212:215], v2 offset:1088                    // 00000000418C: D9FE0440 D4000002
	v_mfma_i32_16x16x32_i8 v[156:159], a[176:177], v[240:241], v[156:159]// 000000004194: D3D7009C 0E73E1B0
	v_mfma_i32_16x16x32_i8 v[156:159], a[178:179], v[242:243], v[156:159]// 00000000419C: D3D7009C 0E73E5B2
	buffer_load_dwordx4 a[56:59], v37, s[24:27], 0 offen offset:2048// 0000000041A4: E05C1800 80863825
	v_mfma_i32_16x16x32_i8 v[156:159], a[180:181], v[244:245], v[156:159]// 0000000041AC: D3D7009C 0E73E9B4
	v_mfma_i32_16x16x32_i8 v[156:159], a[182:183], v[246:247], v[156:159]// 0000000041B4: D3D7009C 0E73EDB6
	ds_read_b128 v[216:219], v2 offset:1152                    // 0000000041BC: D9FE0480 D8000002
	v_mfma_i32_16x16x32_i8 v[156:159], a[184:185], v[248:249], v[156:159]// 0000000041C4: D3D7009C 0E73F1B8
	v_mfma_i32_16x16x32_i8 v[156:159], a[186:187], v[250:251], v[156:159]// 0000000041CC: D3D7009C 0E73F5BA
	buffer_load_dwordx4 a[60:63], v37, s[24:27], 0 offen offset:3072// 0000000041D4: E05C1C00 80863C25
	v_mfma_i32_16x16x32_i8 v[156:159], a[188:189], v[252:253], v[156:159]// 0000000041DC: D3D7009C 0E73F9BC
	v_mfma_i32_16x16x32_i8 v[156:159], a[190:191], v[254:255], v[156:159]// 0000000041E4: D3D7009C 0E73FDBE
	ds_read_b128 v[220:223], v2 offset:1216                    // 0000000041EC: D9FE04C0 DC000002
	s_waitcnt vmcnt(36)                                        // 0000000041F4: BF8C8F74
	v_mfma_i32_16x16x32_i8 v[160:163], a[192:193], v[224:225], v[160:163]// 0000000041F8: D3D700A0 0E83C1C0
	v_mfma_i32_16x16x32_i8 v[160:163], a[194:195], v[226:227], v[160:163]// 000000004200: D3D700A0 0E83C5C2
	buffer_load_dwordx4 a[64:67], v38, s[24:27], 0 offen       // 000000004208: E05C1000 80864026
	v_mfma_i32_16x16x32_i8 v[160:163], a[196:197], v[228:229], v[160:163]// 000000004210: D3D700A0 0E83C9C4
	v_mfma_i32_16x16x32_i8 v[160:163], a[198:199], v[230:231], v[160:163]// 000000004218: D3D700A0 0E83CDC6
	v_mfma_i32_16x16x32_i8 v[160:163], a[200:201], v[232:233], v[160:163]// 000000004220: D3D700A0 0E83D1C8
	v_mfma_i32_16x16x32_i8 v[160:163], a[202:203], v[234:235], v[160:163]// 000000004228: D3D700A0 0E83D5CA
	buffer_load_dwordx4 a[68:71], v38, s[24:27], 0 offen offset:1024// 000000004230: E05C1400 80864426
	v_mfma_i32_16x16x32_i8 v[160:163], a[204:205], v[236:237], v[160:163]// 000000004238: D3D700A0 0E83D9CC
	v_mfma_i32_16x16x32_i8 v[160:163], a[206:207], v[238:239], v[160:163]// 000000004240: D3D700A0 0E83DDCE
	v_mfma_i32_16x16x32_i8 v[164:167], a[192:193], v[240:241], v[164:167]// 000000004248: D3D700A4 0E93E1C0
	v_mfma_i32_16x16x32_i8 v[164:167], a[194:195], v[242:243], v[164:167]// 000000004250: D3D700A4 0E93E5C2
	buffer_load_dwordx4 a[72:75], v38, s[24:27], 0 offen offset:2048// 000000004258: E05C1800 80864826
	v_mfma_i32_16x16x32_i8 v[164:167], a[196:197], v[244:245], v[164:167]// 000000004260: D3D700A4 0E93E9C4
	v_mfma_i32_16x16x32_i8 v[164:167], a[198:199], v[246:247], v[164:167]// 000000004268: D3D700A4 0E93EDC6
	v_mfma_i32_16x16x32_i8 v[164:167], a[200:201], v[248:249], v[164:167]// 000000004270: D3D700A4 0E93F1C8
	v_mfma_i32_16x16x32_i8 v[164:167], a[202:203], v[250:251], v[164:167]// 000000004278: D3D700A4 0E93F5CA
	buffer_load_dwordx4 a[76:79], v38, s[24:27], 0 offen offset:3072// 000000004280: E05C1C00 80864C26
	v_mfma_i32_16x16x32_i8 v[164:167], a[204:205], v[252:253], v[164:167]// 000000004288: D3D700A4 0E93F9CC
	v_mfma_i32_16x16x32_i8 v[164:167], a[206:207], v[254:255], v[164:167]// 000000004290: D3D700A4 0E93FDCE
	s_waitcnt vmcnt(36)                                        // 000000004298: BF8C8F74
	v_mfma_i32_16x16x32_i8 v[168:171], a[208:209], v[224:225], v[168:171]// 00000000429C: D3D700A8 0EA3C1D0
	v_mfma_i32_16x16x32_i8 v[168:171], a[210:211], v[226:227], v[168:171]// 0000000042A4: D3D700A8 0EA3C5D2
	buffer_load_dwordx4 a[80:83], v39, s[24:27], 0 offen       // 0000000042AC: E05C1000 80865027
	v_mfma_i32_16x16x32_i8 v[168:171], a[212:213], v[228:229], v[168:171]// 0000000042B4: D3D700A8 0EA3C9D4
	v_mfma_i32_16x16x32_i8 v[168:171], a[214:215], v[230:231], v[168:171]// 0000000042BC: D3D700A8 0EA3CDD6
	v_mfma_i32_16x16x32_i8 v[168:171], a[216:217], v[232:233], v[168:171]// 0000000042C4: D3D700A8 0EA3D1D8
	v_mfma_i32_16x16x32_i8 v[168:171], a[218:219], v[234:235], v[168:171]// 0000000042CC: D3D700A8 0EA3D5DA
	buffer_load_dwordx4 a[84:87], v39, s[24:27], 0 offen offset:1024// 0000000042D4: E05C1400 80865427
	v_mfma_i32_16x16x32_i8 v[168:171], a[220:221], v[236:237], v[168:171]// 0000000042DC: D3D700A8 0EA3D9DC
	v_mfma_i32_16x16x32_i8 v[168:171], a[222:223], v[238:239], v[168:171]// 0000000042E4: D3D700A8 0EA3DDDE
	v_mfma_i32_16x16x32_i8 v[172:175], a[208:209], v[240:241], v[172:175]// 0000000042EC: D3D700AC 0EB3E1D0
	v_mfma_i32_16x16x32_i8 v[172:175], a[210:211], v[242:243], v[172:175]// 0000000042F4: D3D700AC 0EB3E5D2
	buffer_load_dwordx4 a[88:91], v39, s[24:27], 0 offen offset:2048// 0000000042FC: E05C1800 80865827
	v_mfma_i32_16x16x32_i8 v[172:175], a[212:213], v[244:245], v[172:175]// 000000004304: D3D700AC 0EB3E9D4
	v_mfma_i32_16x16x32_i8 v[172:175], a[214:215], v[246:247], v[172:175]// 00000000430C: D3D700AC 0EB3EDD6
	v_mfma_i32_16x16x32_i8 v[172:175], a[216:217], v[248:249], v[172:175]// 000000004314: D3D700AC 0EB3F1D8
	v_mfma_i32_16x16x32_i8 v[172:175], a[218:219], v[250:251], v[172:175]// 00000000431C: D3D700AC 0EB3F5DA
	buffer_load_dwordx4 a[92:95], v39, s[24:27], 0 offen offset:3072// 000000004324: E05C1C00 80865C27
	v_mfma_i32_16x16x32_i8 v[172:175], a[220:221], v[252:253], v[172:175]// 00000000432C: D3D700AC 0EB3F9DC
	v_mfma_i32_16x16x32_i8 v[172:175], a[222:223], v[254:255], v[172:175]// 000000004334: D3D700AC 0EB3FDDE
	s_waitcnt vmcnt(36)                                        // 00000000433C: BF8C8F74
	v_mfma_i32_16x16x32_i8 v[176:179], a[224:225], v[224:225], v[176:179]// 000000004340: D3D700B0 0EC3C1E0
	v_mfma_i32_16x16x32_i8 v[176:179], a[226:227], v[226:227], v[176:179]// 000000004348: D3D700B0 0EC3C5E2
	buffer_load_dwordx4 a[96:99], v40, s[24:27], 0 offen       // 000000004350: E05C1000 80866028
	v_mfma_i32_16x16x32_i8 v[176:179], a[228:229], v[228:229], v[176:179]// 000000004358: D3D700B0 0EC3C9E4
	v_mfma_i32_16x16x32_i8 v[176:179], a[230:231], v[230:231], v[176:179]// 000000004360: D3D700B0 0EC3CDE6
	v_mfma_i32_16x16x32_i8 v[176:179], a[232:233], v[232:233], v[176:179]// 000000004368: D3D700B0 0EC3D1E8
	v_mfma_i32_16x16x32_i8 v[176:179], a[234:235], v[234:235], v[176:179]// 000000004370: D3D700B0 0EC3D5EA
	buffer_load_dwordx4 a[100:103], v40, s[24:27], 0 offen offset:1024// 000000004378: E05C1400 80866428
	v_mfma_i32_16x16x32_i8 v[176:179], a[236:237], v[236:237], v[176:179]// 000000004380: D3D700B0 0EC3D9EC
	v_mfma_i32_16x16x32_i8 v[176:179], a[238:239], v[238:239], v[176:179]// 000000004388: D3D700B0 0EC3DDEE
	v_mfma_i32_16x16x32_i8 v[180:183], a[224:225], v[240:241], v[180:183]// 000000004390: D3D700B4 0ED3E1E0
	v_mfma_i32_16x16x32_i8 v[180:183], a[226:227], v[242:243], v[180:183]// 000000004398: D3D700B4 0ED3E5E2
	buffer_load_dwordx4 a[104:107], v40, s[24:27], 0 offen offset:2048// 0000000043A0: E05C1800 80866828
	v_mfma_i32_16x16x32_i8 v[180:183], a[228:229], v[244:245], v[180:183]// 0000000043A8: D3D700B4 0ED3E9E4
	v_mfma_i32_16x16x32_i8 v[180:183], a[230:231], v[246:247], v[180:183]// 0000000043B0: D3D700B4 0ED3EDE6
	v_mfma_i32_16x16x32_i8 v[180:183], a[232:233], v[248:249], v[180:183]// 0000000043B8: D3D700B4 0ED3F1E8
	v_mfma_i32_16x16x32_i8 v[180:183], a[234:235], v[250:251], v[180:183]// 0000000043C0: D3D700B4 0ED3F5EA
	buffer_load_dwordx4 a[108:111], v40, s[24:27], 0 offen offset:3072// 0000000043C8: E05C1C00 80866C28
	v_mfma_i32_16x16x32_i8 v[180:183], a[236:237], v[252:253], v[180:183]// 0000000043D0: D3D700B4 0ED3F9EC
	v_mfma_i32_16x16x32_i8 v[180:183], a[238:239], v[254:255], v[180:183]// 0000000043D8: D3D700B4 0ED3FDEE
	s_waitcnt vmcnt(36)                                        // 0000000043E0: BF8C8F74
	v_mfma_i32_16x16x32_i8 v[184:187], a[240:241], v[224:225], v[184:187]// 0000000043E4: D3D700B8 0EE3C1F0
	v_mfma_i32_16x16x32_i8 v[184:187], a[242:243], v[226:227], v[184:187]// 0000000043EC: D3D700B8 0EE3C5F2
	buffer_load_dwordx4 a[112:115], v41, s[24:27], 0 offen     // 0000000043F4: E05C1000 80867029
	v_mfma_i32_16x16x32_i8 v[184:187], a[244:245], v[228:229], v[184:187]// 0000000043FC: D3D700B8 0EE3C9F4
	v_mfma_i32_16x16x32_i8 v[184:187], a[246:247], v[230:231], v[184:187]// 000000004404: D3D700B8 0EE3CDF6
	v_mfma_i32_16x16x32_i8 v[184:187], a[248:249], v[232:233], v[184:187]// 00000000440C: D3D700B8 0EE3D1F8
	v_mfma_i32_16x16x32_i8 v[184:187], a[250:251], v[234:235], v[184:187]// 000000004414: D3D700B8 0EE3D5FA
	buffer_load_dwordx4 a[116:119], v41, s[24:27], 0 offen offset:1024// 00000000441C: E05C1400 80867429
	v_mfma_i32_16x16x32_i8 v[184:187], a[252:253], v[236:237], v[184:187]// 000000004424: D3D700B8 0EE3D9FC
	v_mfma_i32_16x16x32_i8 v[184:187], a[254:255], v[238:239], v[184:187]// 00000000442C: D3D700B8 0EE3DDFE
	v_mfma_i32_16x16x32_i8 v[188:191], a[240:241], v[240:241], v[188:191]// 000000004434: D3D700BC 0EF3E1F0
	v_mfma_i32_16x16x32_i8 v[188:191], a[242:243], v[242:243], v[188:191]// 00000000443C: D3D700BC 0EF3E5F2
	buffer_load_dwordx4 a[120:123], v41, s[24:27], 0 offen offset:2048// 000000004444: E05C1800 80867829
	v_mfma_i32_16x16x32_i8 v[188:191], a[244:245], v[244:245], v[188:191]// 00000000444C: D3D700BC 0EF3E9F4
	v_mfma_i32_16x16x32_i8 v[188:191], a[246:247], v[246:247], v[188:191]// 000000004454: D3D700BC 0EF3EDF6
	v_mfma_i32_16x16x32_i8 v[188:191], a[248:249], v[248:249], v[188:191]// 00000000445C: D3D700BC 0EF3F1F8
	v_mfma_i32_16x16x32_i8 v[188:191], a[250:251], v[250:251], v[188:191]// 000000004464: D3D700BC 0EF3F5FA
	buffer_load_dwordx4 a[124:127], v41, s[24:27], 0 offen offset:3072// 00000000446C: E05C1C00 80867C29
	v_mfma_i32_16x16x32_i8 v[188:191], a[252:253], v[252:253], v[188:191]// 000000004474: D3D700BC 0EF3F9FC
	v_mfma_i32_16x16x32_i8 v[188:191], a[254:255], v[254:255], v[188:191]// 00000000447C: D3D700BC 0EF3FDFE
	s_add_u32 s60, 0x300, s80                                  // 000000004484: 803C50FF 00000300
	s_cmp_lt_u32 s60, s81                                      // 00000000448C: BF0A513C
	s_cselect_b32 s57, s57, 0                                  // 000000004490: 85398039
	s_add_u32 s60, 0x200, s80                                  // 000000004494: 803C50FF 00000200
	s_cmp_lt_u32 s60, s81                                      // 00000000449C: BF0A513C
	s_cselect_b32 s58, s58, 0                                  // 0000000044A0: 853A803A
	s_add_u32 s20, s57, s20                                    // 0000000044A4: 80141439
	s_addc_u32 s21, 0, s21                                     // 0000000044A8: 82151580
	s_add_u32 s24, s58, s24                                    // 0000000044AC: 8018183A
	s_addc_u32 s25, 0, s25                                     // 0000000044B0: 82191980
	s_addk_i32 s80, 0x100                                      // 0000000044B4: B7500100
	s_cmp_lt_i32 s80, s81                                      // 0000000044B8: BF045150
	s_cbranch_scc0 label_05B1                                  // 0000000044BC: BF840001
	s_branch label_02A4                                        // 0000000044C0: BF82FCF3

00000000000044c4 <label_05B1>:
	s_mov_b32 s36, -1                                          // 0000000044C4: BEA400C1
	s_mov_b32 s37, -1                                          // 0000000044C8: BEA500C1
	s_mov_b64 s[60:61], 0                                      // 0000000044CC: BEBC0180
	s_cmp_lt_u32 s82, s66                                      // 0000000044D0: BF0A4252
	s_cselect_b64 s[20:21], s[36:37], s[60:61]                 // 0000000044D4: 85943C24
	s_cmp_lt_u32 s83, s66                                      // 0000000044D8: BF0A4253
	s_cselect_b64 s[22:23], s[36:37], s[60:61]                 // 0000000044DC: 85963C24
	s_cmp_lt_u32 s84, s66                                      // 0000000044E0: BF0A4254
	s_cselect_b64 s[24:25], s[36:37], s[60:61]                 // 0000000044E4: 85983C24
	s_cmp_lt_u32 s85, s66                                      // 0000000044E8: BF0A4255
	s_cselect_b64 s[26:27], s[36:37], s[60:61]                 // 0000000044EC: 859A3C24
	s_cmp_lt_u32 s86, s66                                      // 0000000044F0: BF0A4256
	s_cselect_b64 s[28:29], s[36:37], s[60:61]                 // 0000000044F4: 859C3C24
	s_cmp_lt_u32 s87, s66                                      // 0000000044F8: BF0A4257
	s_cselect_b64 s[30:31], s[36:37], s[60:61]                 // 0000000044FC: 859E3C24
	s_cmp_lt_u32 s88, s66                                      // 000000004500: BF0A4258
	s_cselect_b64 s[32:33], s[36:37], s[60:61]                 // 000000004504: 85A03C24
	s_cmp_lt_u32 s89, s66                                      // 000000004508: BF0A4259
	s_cselect_b64 s[34:35], s[36:37], s[60:61]                 // 00000000450C: 85A23C24
	v_cvt_f32_i32_e32 v128, v128                               // 000000004510: 7F000B80
	v_cvt_f32_i32_e32 v129, v129                               // 000000004514: 7F020B81
	v_cvt_f32_i32_e32 v130, v130                               // 000000004518: 7F040B82
	v_cvt_f32_i32_e32 v131, v131                               // 00000000451C: 7F060B83
	v_mul_f32_e32 v128, v14, v128                              // 000000004520: 0B01010E
	v_mul_f32_e32 v129, v14, v129                              // 000000004524: 0B03030E
	v_mul_f32_e32 v130, v14, v130                              // 000000004528: 0B05050E
	v_mul_f32_e32 v131, v14, v131                              // 00000000452C: 0B07070E
	v_mul_f32_dpp v128, v16, v128 row_newbcast:0 row_mask:0xf bank_mask:0xf// 000000004530: 0B0100FA FF015010
	v_mul_f32_dpp v129, v16, v129 row_newbcast:1 row_mask:0xf bank_mask:0xf// 000000004538: 0B0302FA FF015110
	v_mul_f32_dpp v130, v16, v130 row_newbcast:2 row_mask:0xf bank_mask:0xf// 000000004540: 0B0504FA FF015210
	v_mul_f32_dpp v131, v16, v131 row_newbcast:3 row_mask:0xf bank_mask:0xf// 000000004548: 0B0706FA FF015310
	v_cvt_f32_i32_e32 v132, v132                               // 000000004550: 7F080B84
	v_cvt_f32_i32_e32 v133, v133                               // 000000004554: 7F0A0B85
	v_cvt_f32_i32_e32 v134, v134                               // 000000004558: 7F0C0B86
	v_cvt_f32_i32_e32 v135, v135                               // 00000000455C: 7F0E0B87
	v_mul_f32_e32 v132, v15, v132                              // 000000004560: 0B09090F
	v_mul_f32_e32 v133, v15, v133                              // 000000004564: 0B0B0B0F
	v_mul_f32_e32 v134, v15, v134                              // 000000004568: 0B0D0D0F
	v_mul_f32_e32 v135, v15, v135                              // 00000000456C: 0B0F0F0F
	v_mul_f32_dpp v132, v16, v132 row_newbcast:0 row_mask:0xf bank_mask:0xf// 000000004570: 0B0908FA FF015010
	v_mul_f32_dpp v133, v16, v133 row_newbcast:1 row_mask:0xf bank_mask:0xf// 000000004578: 0B0B0AFA FF015110
	v_mul_f32_dpp v134, v16, v134 row_newbcast:2 row_mask:0xf bank_mask:0xf// 000000004580: 0B0D0CFA FF015210
	v_mul_f32_dpp v135, v16, v135 row_newbcast:3 row_mask:0xf bank_mask:0xf// 000000004588: 0B0F0EFA FF015310
	v_cvt_f32_i32_e32 v136, v136                               // 000000004590: 7F100B88
	v_cvt_f32_i32_e32 v137, v137                               // 000000004594: 7F120B89
	v_cvt_f32_i32_e32 v138, v138                               // 000000004598: 7F140B8A
	v_cvt_f32_i32_e32 v139, v139                               // 00000000459C: 7F160B8B
	v_mul_f32_e32 v136, v14, v136                              // 0000000045A0: 0B11110E
	v_mul_f32_e32 v137, v14, v137                              // 0000000045A4: 0B13130E
	v_mul_f32_e32 v138, v14, v138                              // 0000000045A8: 0B15150E
	v_mul_f32_e32 v139, v14, v139                              // 0000000045AC: 0B17170E
	v_mul_f32_dpp v136, v16, v136 row_newbcast:4 row_mask:0xf bank_mask:0xf// 0000000045B0: 0B1110FA FF015410
	v_mul_f32_dpp v137, v16, v137 row_newbcast:5 row_mask:0xf bank_mask:0xf// 0000000045B8: 0B1312FA FF015510
	v_mul_f32_dpp v138, v16, v138 row_newbcast:6 row_mask:0xf bank_mask:0xf// 0000000045C0: 0B1514FA FF015610
	v_mul_f32_dpp v139, v16, v139 row_newbcast:7 row_mask:0xf bank_mask:0xf// 0000000045C8: 0B1716FA FF015710
	v_cvt_f32_i32_e32 v140, v140                               // 0000000045D0: 7F180B8C
	v_cvt_f32_i32_e32 v141, v141                               // 0000000045D4: 7F1A0B8D
	v_cvt_f32_i32_e32 v142, v142                               // 0000000045D8: 7F1C0B8E
	v_cvt_f32_i32_e32 v143, v143                               // 0000000045DC: 7F1E0B8F
	v_mul_f32_e32 v140, v15, v140                              // 0000000045E0: 0B19190F
	v_mul_f32_e32 v141, v15, v141                              // 0000000045E4: 0B1B1B0F
	v_mul_f32_e32 v142, v15, v142                              // 0000000045E8: 0B1D1D0F
	v_mul_f32_e32 v143, v15, v143                              // 0000000045EC: 0B1F1F0F
	v_mul_f32_dpp v140, v16, v140 row_newbcast:4 row_mask:0xf bank_mask:0xf// 0000000045F0: 0B1918FA FF015410
	v_mul_f32_dpp v141, v16, v141 row_newbcast:5 row_mask:0xf bank_mask:0xf// 0000000045F8: 0B1B1AFA FF015510
	v_mul_f32_dpp v142, v16, v142 row_newbcast:6 row_mask:0xf bank_mask:0xf// 000000004600: 0B1D1CFA FF015610
	v_mul_f32_dpp v143, v16, v143 row_newbcast:7 row_mask:0xf bank_mask:0xf// 000000004608: 0B1F1EFA FF015710
	v_cvt_f32_i32_e32 v144, v144                               // 000000004610: 7F200B90
	v_cvt_f32_i32_e32 v145, v145                               // 000000004614: 7F220B91
	v_cvt_f32_i32_e32 v146, v146                               // 000000004618: 7F240B92
	v_cvt_f32_i32_e32 v147, v147                               // 00000000461C: 7F260B93
	v_mul_f32_e32 v144, v14, v144                              // 000000004620: 0B21210E
	v_mul_f32_e32 v145, v14, v145                              // 000000004624: 0B23230E
	v_mul_f32_e32 v146, v14, v146                              // 000000004628: 0B25250E
	v_mul_f32_e32 v147, v14, v147                              // 00000000462C: 0B27270E
	v_mul_f32_dpp v144, v16, v144 row_newbcast:8 row_mask:0xf bank_mask:0xf// 000000004630: 0B2120FA FF015810
	v_mul_f32_dpp v145, v16, v145 row_newbcast:9 row_mask:0xf bank_mask:0xf// 000000004638: 0B2322FA FF015910
	v_mul_f32_dpp v146, v16, v146 row_newbcast:10 row_mask:0xf bank_mask:0xf// 000000004640: 0B2524FA FF015A10
	v_mul_f32_dpp v147, v16, v147 row_newbcast:11 row_mask:0xf bank_mask:0xf// 000000004648: 0B2726FA FF015B10
	v_cvt_f32_i32_e32 v148, v148                               // 000000004650: 7F280B94
	v_cvt_f32_i32_e32 v149, v149                               // 000000004654: 7F2A0B95
	v_cvt_f32_i32_e32 v150, v150                               // 000000004658: 7F2C0B96
	v_cvt_f32_i32_e32 v151, v151                               // 00000000465C: 7F2E0B97
	v_mul_f32_e32 v148, v15, v148                              // 000000004660: 0B29290F
	v_mul_f32_e32 v149, v15, v149                              // 000000004664: 0B2B2B0F
	v_mul_f32_e32 v150, v15, v150                              // 000000004668: 0B2D2D0F
	v_mul_f32_e32 v151, v15, v151                              // 00000000466C: 0B2F2F0F
	v_mul_f32_dpp v148, v16, v148 row_newbcast:8 row_mask:0xf bank_mask:0xf// 000000004670: 0B2928FA FF015810
	v_mul_f32_dpp v149, v16, v149 row_newbcast:9 row_mask:0xf bank_mask:0xf// 000000004678: 0B2B2AFA FF015910
	v_mul_f32_dpp v150, v16, v150 row_newbcast:10 row_mask:0xf bank_mask:0xf// 000000004680: 0B2D2CFA FF015A10
	v_mul_f32_dpp v151, v16, v151 row_newbcast:11 row_mask:0xf bank_mask:0xf// 000000004688: 0B2F2EFA FF015B10
	v_cvt_f32_i32_e32 v152, v152                               // 000000004690: 7F300B98
	v_cvt_f32_i32_e32 v153, v153                               // 000000004694: 7F320B99
	v_cvt_f32_i32_e32 v154, v154                               // 000000004698: 7F340B9A
	v_cvt_f32_i32_e32 v155, v155                               // 00000000469C: 7F360B9B
	v_mul_f32_e32 v152, v14, v152                              // 0000000046A0: 0B31310E
	v_mul_f32_e32 v153, v14, v153                              // 0000000046A4: 0B33330E
	v_mul_f32_e32 v154, v14, v154                              // 0000000046A8: 0B35350E
	v_mul_f32_e32 v155, v14, v155                              // 0000000046AC: 0B37370E
	v_mul_f32_dpp v152, v16, v152 row_newbcast:12 row_mask:0xf bank_mask:0xf// 0000000046B0: 0B3130FA FF015C10
	v_mul_f32_dpp v153, v16, v153 row_newbcast:13 row_mask:0xf bank_mask:0xf// 0000000046B8: 0B3332FA FF015D10
	v_mul_f32_dpp v154, v16, v154 row_newbcast:14 row_mask:0xf bank_mask:0xf// 0000000046C0: 0B3534FA FF015E10
	v_mul_f32_dpp v155, v16, v155 row_newbcast:15 row_mask:0xf bank_mask:0xf// 0000000046C8: 0B3736FA FF015F10
	v_cvt_f32_i32_e32 v156, v156                               // 0000000046D0: 7F380B9C
	v_cvt_f32_i32_e32 v157, v157                               // 0000000046D4: 7F3A0B9D
	v_cvt_f32_i32_e32 v158, v158                               // 0000000046D8: 7F3C0B9E
	v_cvt_f32_i32_e32 v159, v159                               // 0000000046DC: 7F3E0B9F
	v_mul_f32_e32 v156, v15, v156                              // 0000000046E0: 0B39390F
	v_mul_f32_e32 v157, v15, v157                              // 0000000046E4: 0B3B3B0F
	v_mul_f32_e32 v158, v15, v158                              // 0000000046E8: 0B3D3D0F
	v_mul_f32_e32 v159, v15, v159                              // 0000000046EC: 0B3F3F0F
	v_mul_f32_dpp v156, v16, v156 row_newbcast:12 row_mask:0xf bank_mask:0xf// 0000000046F0: 0B3938FA FF015C10
	v_mul_f32_dpp v157, v16, v157 row_newbcast:13 row_mask:0xf bank_mask:0xf// 0000000046F8: 0B3B3AFA FF015D10
	v_mul_f32_dpp v158, v16, v158 row_newbcast:14 row_mask:0xf bank_mask:0xf// 000000004700: 0B3D3CFA FF015E10
	v_mul_f32_dpp v159, v16, v159 row_newbcast:15 row_mask:0xf bank_mask:0xf// 000000004708: 0B3F3EFA FF015F10
	v_cvt_f32_i32_e32 v160, v160                               // 000000004710: 7F400BA0
	v_cvt_f32_i32_e32 v161, v161                               // 000000004714: 7F420BA1
	v_cvt_f32_i32_e32 v162, v162                               // 000000004718: 7F440BA2
	v_cvt_f32_i32_e32 v163, v163                               // 00000000471C: 7F460BA3
	v_mul_f32_e32 v160, v14, v160                              // 000000004720: 0B41410E
	v_mul_f32_e32 v161, v14, v161                              // 000000004724: 0B43430E
	v_mul_f32_e32 v162, v14, v162                              // 000000004728: 0B45450E
	v_mul_f32_e32 v163, v14, v163                              // 00000000472C: 0B47470E
	v_mul_f32_dpp v160, v17, v160 row_newbcast:0 row_mask:0xf bank_mask:0xf// 000000004730: 0B4140FA FF015011
	v_mul_f32_dpp v161, v17, v161 row_newbcast:1 row_mask:0xf bank_mask:0xf// 000000004738: 0B4342FA FF015111
	v_mul_f32_dpp v162, v17, v162 row_newbcast:2 row_mask:0xf bank_mask:0xf// 000000004740: 0B4544FA FF015211
	v_mul_f32_dpp v163, v17, v163 row_newbcast:3 row_mask:0xf bank_mask:0xf// 000000004748: 0B4746FA FF015311
	v_cvt_f32_i32_e32 v164, v164                               // 000000004750: 7F480BA4
	v_cvt_f32_i32_e32 v165, v165                               // 000000004754: 7F4A0BA5
	v_cvt_f32_i32_e32 v166, v166                               // 000000004758: 7F4C0BA6
	v_cvt_f32_i32_e32 v167, v167                               // 00000000475C: 7F4E0BA7
	v_mul_f32_e32 v164, v15, v164                              // 000000004760: 0B49490F
	v_mul_f32_e32 v165, v15, v165                              // 000000004764: 0B4B4B0F
	v_mul_f32_e32 v166, v15, v166                              // 000000004768: 0B4D4D0F
	v_mul_f32_e32 v167, v15, v167                              // 00000000476C: 0B4F4F0F
	v_mul_f32_dpp v164, v17, v164 row_newbcast:0 row_mask:0xf bank_mask:0xf// 000000004770: 0B4948FA FF015011
	v_mul_f32_dpp v165, v17, v165 row_newbcast:1 row_mask:0xf bank_mask:0xf// 000000004778: 0B4B4AFA FF015111
	v_mul_f32_dpp v166, v17, v166 row_newbcast:2 row_mask:0xf bank_mask:0xf// 000000004780: 0B4D4CFA FF015211
	v_mul_f32_dpp v167, v17, v167 row_newbcast:3 row_mask:0xf bank_mask:0xf// 000000004788: 0B4F4EFA FF015311
	v_cvt_f32_i32_e32 v168, v168                               // 000000004790: 7F500BA8
	v_cvt_f32_i32_e32 v169, v169                               // 000000004794: 7F520BA9
	v_cvt_f32_i32_e32 v170, v170                               // 000000004798: 7F540BAA
	v_cvt_f32_i32_e32 v171, v171                               // 00000000479C: 7F560BAB
	v_mul_f32_e32 v168, v14, v168                              // 0000000047A0: 0B51510E
	v_mul_f32_e32 v169, v14, v169                              // 0000000047A4: 0B53530E
	v_mul_f32_e32 v170, v14, v170                              // 0000000047A8: 0B55550E
	v_mul_f32_e32 v171, v14, v171                              // 0000000047AC: 0B57570E
	v_mul_f32_dpp v168, v17, v168 row_newbcast:4 row_mask:0xf bank_mask:0xf// 0000000047B0: 0B5150FA FF015411
	v_mul_f32_dpp v169, v17, v169 row_newbcast:5 row_mask:0xf bank_mask:0xf// 0000000047B8: 0B5352FA FF015511
	v_mul_f32_dpp v170, v17, v170 row_newbcast:6 row_mask:0xf bank_mask:0xf// 0000000047C0: 0B5554FA FF015611
	v_mul_f32_dpp v171, v17, v171 row_newbcast:7 row_mask:0xf bank_mask:0xf// 0000000047C8: 0B5756FA FF015711
	v_cvt_f32_i32_e32 v172, v172                               // 0000000047D0: 7F580BAC
	v_cvt_f32_i32_e32 v173, v173                               // 0000000047D4: 7F5A0BAD
	v_cvt_f32_i32_e32 v174, v174                               // 0000000047D8: 7F5C0BAE
	v_cvt_f32_i32_e32 v175, v175                               // 0000000047DC: 7F5E0BAF
	v_mul_f32_e32 v172, v15, v172                              // 0000000047E0: 0B59590F
	v_mul_f32_e32 v173, v15, v173                              // 0000000047E4: 0B5B5B0F
	v_mul_f32_e32 v174, v15, v174                              // 0000000047E8: 0B5D5D0F
	v_mul_f32_e32 v175, v15, v175                              // 0000000047EC: 0B5F5F0F
	v_mul_f32_dpp v172, v17, v172 row_newbcast:4 row_mask:0xf bank_mask:0xf// 0000000047F0: 0B5958FA FF015411
	v_mul_f32_dpp v173, v17, v173 row_newbcast:5 row_mask:0xf bank_mask:0xf// 0000000047F8: 0B5B5AFA FF015511
	v_mul_f32_dpp v174, v17, v174 row_newbcast:6 row_mask:0xf bank_mask:0xf// 000000004800: 0B5D5CFA FF015611
	v_mul_f32_dpp v175, v17, v175 row_newbcast:7 row_mask:0xf bank_mask:0xf// 000000004808: 0B5F5EFA FF015711
	v_cvt_f32_i32_e32 v176, v176                               // 000000004810: 7F600BB0
	v_cvt_f32_i32_e32 v177, v177                               // 000000004814: 7F620BB1
	v_cvt_f32_i32_e32 v178, v178                               // 000000004818: 7F640BB2
	v_cvt_f32_i32_e32 v179, v179                               // 00000000481C: 7F660BB3
	v_mul_f32_e32 v176, v14, v176                              // 000000004820: 0B61610E
	v_mul_f32_e32 v177, v14, v177                              // 000000004824: 0B63630E
	v_mul_f32_e32 v178, v14, v178                              // 000000004828: 0B65650E
	v_mul_f32_e32 v179, v14, v179                              // 00000000482C: 0B67670E
	v_mul_f32_dpp v176, v17, v176 row_newbcast:8 row_mask:0xf bank_mask:0xf// 000000004830: 0B6160FA FF015811
	v_mul_f32_dpp v177, v17, v177 row_newbcast:9 row_mask:0xf bank_mask:0xf// 000000004838: 0B6362FA FF015911
	v_mul_f32_dpp v178, v17, v178 row_newbcast:10 row_mask:0xf bank_mask:0xf// 000000004840: 0B6564FA FF015A11
	v_mul_f32_dpp v179, v17, v179 row_newbcast:11 row_mask:0xf bank_mask:0xf// 000000004848: 0B6766FA FF015B11
	v_cvt_f32_i32_e32 v180, v180                               // 000000004850: 7F680BB4
	v_cvt_f32_i32_e32 v181, v181                               // 000000004854: 7F6A0BB5
	v_cvt_f32_i32_e32 v182, v182                               // 000000004858: 7F6C0BB6
	v_cvt_f32_i32_e32 v183, v183                               // 00000000485C: 7F6E0BB7
	v_mul_f32_e32 v180, v15, v180                              // 000000004860: 0B69690F
	v_mul_f32_e32 v181, v15, v181                              // 000000004864: 0B6B6B0F
	v_mul_f32_e32 v182, v15, v182                              // 000000004868: 0B6D6D0F
	v_mul_f32_e32 v183, v15, v183                              // 00000000486C: 0B6F6F0F
	v_mul_f32_dpp v180, v17, v180 row_newbcast:8 row_mask:0xf bank_mask:0xf// 000000004870: 0B6968FA FF015811
	v_mul_f32_dpp v181, v17, v181 row_newbcast:9 row_mask:0xf bank_mask:0xf// 000000004878: 0B6B6AFA FF015911
	v_mul_f32_dpp v182, v17, v182 row_newbcast:10 row_mask:0xf bank_mask:0xf// 000000004880: 0B6D6CFA FF015A11
	v_mul_f32_dpp v183, v17, v183 row_newbcast:11 row_mask:0xf bank_mask:0xf// 000000004888: 0B6F6EFA FF015B11
	v_cvt_f32_i32_e32 v184, v184                               // 000000004890: 7F700BB8
	v_cvt_f32_i32_e32 v185, v185                               // 000000004894: 7F720BB9
	v_cvt_f32_i32_e32 v186, v186                               // 000000004898: 7F740BBA
	v_cvt_f32_i32_e32 v187, v187                               // 00000000489C: 7F760BBB
	v_mul_f32_e32 v184, v14, v184                              // 0000000048A0: 0B71710E
	v_mul_f32_e32 v185, v14, v185                              // 0000000048A4: 0B73730E
	v_mul_f32_e32 v186, v14, v186                              // 0000000048A8: 0B75750E
	v_mul_f32_e32 v187, v14, v187                              // 0000000048AC: 0B77770E
	v_mul_f32_dpp v184, v17, v184 row_newbcast:12 row_mask:0xf bank_mask:0xf// 0000000048B0: 0B7170FA FF015C11
	v_mul_f32_dpp v185, v17, v185 row_newbcast:13 row_mask:0xf bank_mask:0xf// 0000000048B8: 0B7372FA FF015D11
	v_mul_f32_dpp v186, v17, v186 row_newbcast:14 row_mask:0xf bank_mask:0xf// 0000000048C0: 0B7574FA FF015E11
	v_mul_f32_dpp v187, v17, v187 row_newbcast:15 row_mask:0xf bank_mask:0xf// 0000000048C8: 0B7776FA FF015F11
	v_cvt_f32_i32_e32 v188, v188                               // 0000000048D0: 7F780BBC
	v_cvt_f32_i32_e32 v189, v189                               // 0000000048D4: 7F7A0BBD
	v_cvt_f32_i32_e32 v190, v190                               // 0000000048D8: 7F7C0BBE
	v_cvt_f32_i32_e32 v191, v191                               // 0000000048DC: 7F7E0BBF
	v_mul_f32_e32 v188, v15, v188                              // 0000000048E0: 0B79790F
	v_mul_f32_e32 v189, v15, v189                              // 0000000048E4: 0B7B7B0F
	v_mul_f32_e32 v190, v15, v190                              // 0000000048E8: 0B7D7D0F
	v_mul_f32_e32 v191, v15, v191                              // 0000000048EC: 0B7F7F0F
	v_mul_f32_dpp v188, v17, v188 row_newbcast:12 row_mask:0xf bank_mask:0xf// 0000000048F0: 0B7978FA FF015C11
	v_mul_f32_dpp v189, v17, v189 row_newbcast:13 row_mask:0xf bank_mask:0xf// 0000000048F8: 0B7B7AFA FF015D11
	v_mul_f32_dpp v190, v17, v190 row_newbcast:14 row_mask:0xf bank_mask:0xf// 000000004900: 0B7D7CFA FF015E11
	v_mul_f32_dpp v191, v17, v191 row_newbcast:15 row_mask:0xf bank_mask:0xf// 000000004908: 0B7F7EFA FF015F11
	s_waitcnt vmcnt(28)                                        // 000000004910: BF8C4F7C
	buffer_load_dwordx4 a[0:3], v42, s[12:15], 0 offen         // 000000004914: E05C1000 8083002A
	v_mul_f32_e32 v50, v128, v128                              // 00000000491C: 0A650180
	v_mul_f32_e32 v51, v129, v129                              // 000000004920: 0A670381
	v_mul_f32_e32 v52, v130, v130                              // 000000004924: 0A690582
	v_mul_f32_e32 v53, v131, v131                              // 000000004928: 0A6B0783
	v_fma_f32 v50, v50, s77, v1                                // 00000000492C: D1CB0032 04049B32
	v_fma_f32 v51, v51, s77, v1                                // 000000004934: D1CB0033 04049B33
	v_fma_f32 v52, v52, s77, v1                                // 00000000493C: D1CB0034 04049B34
	v_fma_f32 v53, v53, s77, v1                                // 000000004944: D1CB0035 04049B35
	v_mul_f32_e32 v50, v50, v128                               // 00000000494C: 0A650132
	v_mul_f32_e32 v51, v51, v129                               // 000000004950: 0A670333
	v_mul_f32_e32 v52, v52, v130                               // 000000004954: 0A690534
	v_mul_f32_e32 v53, v53, v131                               // 000000004958: 0A6B0735
	v_mul_f32_e64 v50, v50, s6                                 // 00000000495C: D1050032 00000D32
	v_mul_f32_e64 v51, v51, s6                                 // 000000004964: D1050033 00000D33
	v_mul_f32_e64 v52, v52, s6                                 // 00000000496C: D1050034 00000D34
	v_mul_f32_e64 v53, v53, s6                                 // 000000004974: D1050035 00000D35
	v_exp_f32_e32 v50, v50                                     // 00000000497C: 7E644132
	v_exp_f32_e32 v51, v51                                     // 000000004980: 7E664133
	v_exp_f32_e32 v52, v52                                     // 000000004984: 7E684134
	v_exp_f32_e32 v53, v53                                     // 000000004988: 7E6A4135
	buffer_load_dwordx4 a[4:7], v43, s[12:15], 0 offen         // 00000000498C: E05C1000 8083042B
	v_add_f32_e64 v50, v50, 1.0                                // 000000004994: D1010032 0001E532
	v_add_f32_e64 v51, v51, 1.0                                // 00000000499C: D1010033 0001E533
	v_add_f32_e64 v52, v52, 1.0                                // 0000000049A4: D1010034 0001E534
	v_add_f32_e64 v53, v53, 1.0                                // 0000000049AC: D1010035 0001E535
	v_rcp_f32_e32 v50, v50                                     // 0000000049B4: 7E644532
	v_rcp_f32_e32 v51, v51                                     // 0000000049B8: 7E664533
	v_rcp_f32_e32 v52, v52                                     // 0000000049BC: 7E684534
	v_rcp_f32_e32 v53, v53                                     // 0000000049C0: 7E6A4535
	v_mul_f32_e32 v128, v128, v50                              // 0000000049C4: 0B006580
	v_mul_f32_e32 v129, v129, v51                              // 0000000049C8: 0B026781
	v_mul_f32_e32 v130, v130, v52                              // 0000000049CC: 0B046982
	v_mul_f32_e32 v131, v131, v53                              // 0000000049D0: 0B066B83
	buffer_load_dwordx4 a[8:11], v44, s[12:15], 0 offen        // 0000000049D4: E05C1000 8083082C
	v_mul_f32_e32 v50, v132, v132                              // 0000000049DC: 0A650984
	v_mul_f32_e32 v51, v133, v133                              // 0000000049E0: 0A670B85
	v_mul_f32_e32 v52, v134, v134                              // 0000000049E4: 0A690D86
	v_mul_f32_e32 v53, v135, v135                              // 0000000049E8: 0A6B0F87
	v_fma_f32 v50, v50, s77, v1                                // 0000000049EC: D1CB0032 04049B32
	v_fma_f32 v51, v51, s77, v1                                // 0000000049F4: D1CB0033 04049B33
	v_fma_f32 v52, v52, s77, v1                                // 0000000049FC: D1CB0034 04049B34
	v_fma_f32 v53, v53, s77, v1                                // 000000004A04: D1CB0035 04049B35
	v_mul_f32_e32 v50, v50, v132                               // 000000004A0C: 0A650932
	v_mul_f32_e32 v51, v51, v133                               // 000000004A10: 0A670B33
	v_mul_f32_e32 v52, v52, v134                               // 000000004A14: 0A690D34
	v_mul_f32_e32 v53, v53, v135                               // 000000004A18: 0A6B0F35
	v_mul_f32_e64 v50, v50, s6                                 // 000000004A1C: D1050032 00000D32
	v_mul_f32_e64 v51, v51, s6                                 // 000000004A24: D1050033 00000D33
	v_mul_f32_e64 v52, v52, s6                                 // 000000004A2C: D1050034 00000D34
	v_mul_f32_e64 v53, v53, s6                                 // 000000004A34: D1050035 00000D35
	v_exp_f32_e32 v50, v50                                     // 000000004A3C: 7E644132
	v_exp_f32_e32 v51, v51                                     // 000000004A40: 7E664133
	v_exp_f32_e32 v52, v52                                     // 000000004A44: 7E684134
	v_exp_f32_e32 v53, v53                                     // 000000004A48: 7E6A4135
	buffer_load_dwordx4 a[12:15], v45, s[12:15], 0 offen       // 000000004A4C: E05C1000 80830C2D
	s_add_u32 s12, s78, s12                                    // 000000004A54: 800C0C4E
	s_addc_u32 s13, 0, s13                                     // 000000004A58: 820D0D80
	v_add_f32_e64 v50, v50, 1.0                                // 000000004A5C: D1010032 0001E532
	v_add_f32_e64 v51, v51, 1.0                                // 000000004A64: D1010033 0001E533
	v_add_f32_e64 v52, v52, 1.0                                // 000000004A6C: D1010034 0001E534
	v_add_f32_e64 v53, v53, 1.0                                // 000000004A74: D1010035 0001E535
	v_rcp_f32_e32 v50, v50                                     // 000000004A7C: 7E644532
	v_rcp_f32_e32 v51, v51                                     // 000000004A80: 7E664533
	v_rcp_f32_e32 v52, v52                                     // 000000004A84: 7E684534
	v_rcp_f32_e32 v53, v53                                     // 000000004A88: 7E6A4535
	v_mul_f32_e32 v132, v132, v50                              // 000000004A8C: 0B086584
	v_mul_f32_e32 v133, v133, v51                              // 000000004A90: 0B0A6785
	v_mul_f32_e32 v134, v134, v52                              // 000000004A94: 0B0C6986
	v_mul_f32_e32 v135, v135, v53                              // 000000004A98: 0B0E6B87
	s_waitcnt vmcnt(28)                                        // 000000004A9C: BF8C4F7C
	buffer_load_dwordx4 a[16:19], v42, s[12:15], 0 offen       // 000000004AA0: E05C1000 8083102A
	v_mul_f32_e32 v50, v136, v136                              // 000000004AA8: 0A651188
	v_mul_f32_e32 v51, v137, v137                              // 000000004AAC: 0A671389
	v_mul_f32_e32 v52, v138, v138                              // 000000004AB0: 0A69158A
	v_mul_f32_e32 v53, v139, v139                              // 000000004AB4: 0A6B178B
	v_fma_f32 v50, v50, s77, v1                                // 000000004AB8: D1CB0032 04049B32
	v_fma_f32 v51, v51, s77, v1                                // 000000004AC0: D1CB0033 04049B33
	v_fma_f32 v52, v52, s77, v1                                // 000000004AC8: D1CB0034 04049B34
	v_fma_f32 v53, v53, s77, v1                                // 000000004AD0: D1CB0035 04049B35
	v_mul_f32_e32 v50, v50, v136                               // 000000004AD8: 0A651132
	v_mul_f32_e32 v51, v51, v137                               // 000000004ADC: 0A671333
	v_mul_f32_e32 v52, v52, v138                               // 000000004AE0: 0A691534
	v_mul_f32_e32 v53, v53, v139                               // 000000004AE4: 0A6B1735
	v_mul_f32_e64 v50, v50, s6                                 // 000000004AE8: D1050032 00000D32
	v_mul_f32_e64 v51, v51, s6                                 // 000000004AF0: D1050033 00000D33
	v_mul_f32_e64 v52, v52, s6                                 // 000000004AF8: D1050034 00000D34
	v_mul_f32_e64 v53, v53, s6                                 // 000000004B00: D1050035 00000D35
	v_exp_f32_e32 v50, v50                                     // 000000004B08: 7E644132
	v_exp_f32_e32 v51, v51                                     // 000000004B0C: 7E664133
	v_exp_f32_e32 v52, v52                                     // 000000004B10: 7E684134
	v_exp_f32_e32 v53, v53                                     // 000000004B14: 7E6A4135
	buffer_load_dwordx4 a[20:23], v43, s[12:15], 0 offen       // 000000004B18: E05C1000 8083142B
	v_add_f32_e64 v50, v50, 1.0                                // 000000004B20: D1010032 0001E532
	v_add_f32_e64 v51, v51, 1.0                                // 000000004B28: D1010033 0001E533
	v_add_f32_e64 v52, v52, 1.0                                // 000000004B30: D1010034 0001E534
	v_add_f32_e64 v53, v53, 1.0                                // 000000004B38: D1010035 0001E535
	v_rcp_f32_e32 v50, v50                                     // 000000004B40: 7E644532
	v_rcp_f32_e32 v51, v51                                     // 000000004B44: 7E664533
	v_rcp_f32_e32 v52, v52                                     // 000000004B48: 7E684534
	v_rcp_f32_e32 v53, v53                                     // 000000004B4C: 7E6A4535
	v_mul_f32_e32 v136, v136, v50                              // 000000004B50: 0B106588
	v_mul_f32_e32 v137, v137, v51                              // 000000004B54: 0B126789
	v_mul_f32_e32 v138, v138, v52                              // 000000004B58: 0B14698A
	v_mul_f32_e32 v139, v139, v53                              // 000000004B5C: 0B166B8B
	buffer_load_dwordx4 a[24:27], v44, s[12:15], 0 offen       // 000000004B60: E05C1000 8083182C
	v_mul_f32_e32 v50, v140, v140                              // 000000004B68: 0A65198C
	v_mul_f32_e32 v51, v141, v141                              // 000000004B6C: 0A671B8D
	v_mul_f32_e32 v52, v142, v142                              // 000000004B70: 0A691D8E
	v_mul_f32_e32 v53, v143, v143                              // 000000004B74: 0A6B1F8F
	v_fma_f32 v50, v50, s77, v1                                // 000000004B78: D1CB0032 04049B32
	v_fma_f32 v51, v51, s77, v1                                // 000000004B80: D1CB0033 04049B33
	v_fma_f32 v52, v52, s77, v1                                // 000000004B88: D1CB0034 04049B34
	v_fma_f32 v53, v53, s77, v1                                // 000000004B90: D1CB0035 04049B35
	v_mul_f32_e32 v50, v50, v140                               // 000000004B98: 0A651932
	v_mul_f32_e32 v51, v51, v141                               // 000000004B9C: 0A671B33
	v_mul_f32_e32 v52, v52, v142                               // 000000004BA0: 0A691D34
	v_mul_f32_e32 v53, v53, v143                               // 000000004BA4: 0A6B1F35
	v_mul_f32_e64 v50, v50, s6                                 // 000000004BA8: D1050032 00000D32
	v_mul_f32_e64 v51, v51, s6                                 // 000000004BB0: D1050033 00000D33
	v_mul_f32_e64 v52, v52, s6                                 // 000000004BB8: D1050034 00000D34
	v_mul_f32_e64 v53, v53, s6                                 // 000000004BC0: D1050035 00000D35
	v_exp_f32_e32 v50, v50                                     // 000000004BC8: 7E644132
	v_exp_f32_e32 v51, v51                                     // 000000004BCC: 7E664133
	v_exp_f32_e32 v52, v52                                     // 000000004BD0: 7E684134
	v_exp_f32_e32 v53, v53                                     // 000000004BD4: 7E6A4135
	buffer_load_dwordx4 a[28:31], v45, s[12:15], 0 offen       // 000000004BD8: E05C1000 80831C2D
	s_add_u32 s12, s78, s12                                    // 000000004BE0: 800C0C4E
	s_addc_u32 s13, 0, s13                                     // 000000004BE4: 820D0D80
	v_add_f32_e64 v50, v50, 1.0                                // 000000004BE8: D1010032 0001E532
	v_add_f32_e64 v51, v51, 1.0                                // 000000004BF0: D1010033 0001E533
	v_add_f32_e64 v52, v52, 1.0                                // 000000004BF8: D1010034 0001E534
	v_add_f32_e64 v53, v53, 1.0                                // 000000004C00: D1010035 0001E535
	v_rcp_f32_e32 v50, v50                                     // 000000004C08: 7E644532
	v_rcp_f32_e32 v51, v51                                     // 000000004C0C: 7E664533
	v_rcp_f32_e32 v52, v52                                     // 000000004C10: 7E684534
	v_rcp_f32_e32 v53, v53                                     // 000000004C14: 7E6A4535
	v_mul_f32_e32 v140, v140, v50                              // 000000004C18: 0B18658C
	v_mul_f32_e32 v141, v141, v51                              // 000000004C1C: 0B1A678D
	v_mul_f32_e32 v142, v142, v52                              // 000000004C20: 0B1C698E
	v_mul_f32_e32 v143, v143, v53                              // 000000004C24: 0B1E6B8F
	s_waitcnt vmcnt(28)                                        // 000000004C28: BF8C4F7C
	buffer_load_dwordx4 a[32:35], v42, s[12:15], 0 offen       // 000000004C2C: E05C1000 8083202A
	v_mul_f32_e32 v50, v144, v144                              // 000000004C34: 0A652190
	v_mul_f32_e32 v51, v145, v145                              // 000000004C38: 0A672391
	v_mul_f32_e32 v52, v146, v146                              // 000000004C3C: 0A692592
	v_mul_f32_e32 v53, v147, v147                              // 000000004C40: 0A6B2793
	v_fma_f32 v50, v50, s77, v1                                // 000000004C44: D1CB0032 04049B32
	v_fma_f32 v51, v51, s77, v1                                // 000000004C4C: D1CB0033 04049B33
	v_fma_f32 v52, v52, s77, v1                                // 000000004C54: D1CB0034 04049B34
	v_fma_f32 v53, v53, s77, v1                                // 000000004C5C: D1CB0035 04049B35
	v_mul_f32_e32 v50, v50, v144                               // 000000004C64: 0A652132
	v_mul_f32_e32 v51, v51, v145                               // 000000004C68: 0A672333
	v_mul_f32_e32 v52, v52, v146                               // 000000004C6C: 0A692534
	v_mul_f32_e32 v53, v53, v147                               // 000000004C70: 0A6B2735
	v_mul_f32_e64 v50, v50, s6                                 // 000000004C74: D1050032 00000D32
	v_mul_f32_e64 v51, v51, s6                                 // 000000004C7C: D1050033 00000D33
	v_mul_f32_e64 v52, v52, s6                                 // 000000004C84: D1050034 00000D34
	v_mul_f32_e64 v53, v53, s6                                 // 000000004C8C: D1050035 00000D35
	v_exp_f32_e32 v50, v50                                     // 000000004C94: 7E644132
	v_exp_f32_e32 v51, v51                                     // 000000004C98: 7E664133
	v_exp_f32_e32 v52, v52                                     // 000000004C9C: 7E684134
	v_exp_f32_e32 v53, v53                                     // 000000004CA0: 7E6A4135
	buffer_load_dwordx4 a[36:39], v43, s[12:15], 0 offen       // 000000004CA4: E05C1000 8083242B
	v_add_f32_e64 v50, v50, 1.0                                // 000000004CAC: D1010032 0001E532
	v_add_f32_e64 v51, v51, 1.0                                // 000000004CB4: D1010033 0001E533
	v_add_f32_e64 v52, v52, 1.0                                // 000000004CBC: D1010034 0001E534
	v_add_f32_e64 v53, v53, 1.0                                // 000000004CC4: D1010035 0001E535
	v_rcp_f32_e32 v50, v50                                     // 000000004CCC: 7E644532
	v_rcp_f32_e32 v51, v51                                     // 000000004CD0: 7E664533
	v_rcp_f32_e32 v52, v52                                     // 000000004CD4: 7E684534
	v_rcp_f32_e32 v53, v53                                     // 000000004CD8: 7E6A4535
	v_mul_f32_e32 v144, v144, v50                              // 000000004CDC: 0B206590
	v_mul_f32_e32 v145, v145, v51                              // 000000004CE0: 0B226791
	v_mul_f32_e32 v146, v146, v52                              // 000000004CE4: 0B246992
	v_mul_f32_e32 v147, v147, v53                              // 000000004CE8: 0B266B93
	buffer_load_dwordx4 a[40:43], v44, s[12:15], 0 offen       // 000000004CEC: E05C1000 8083282C
	v_mul_f32_e32 v50, v148, v148                              // 000000004CF4: 0A652994
	v_mul_f32_e32 v51, v149, v149                              // 000000004CF8: 0A672B95
	v_mul_f32_e32 v52, v150, v150                              // 000000004CFC: 0A692D96
	v_mul_f32_e32 v53, v151, v151                              // 000000004D00: 0A6B2F97
	v_fma_f32 v50, v50, s77, v1                                // 000000004D04: D1CB0032 04049B32
	v_fma_f32 v51, v51, s77, v1                                // 000000004D0C: D1CB0033 04049B33
	v_fma_f32 v52, v52, s77, v1                                // 000000004D14: D1CB0034 04049B34
	v_fma_f32 v53, v53, s77, v1                                // 000000004D1C: D1CB0035 04049B35
	v_mul_f32_e32 v50, v50, v148                               // 000000004D24: 0A652932
	v_mul_f32_e32 v51, v51, v149                               // 000000004D28: 0A672B33
	v_mul_f32_e32 v52, v52, v150                               // 000000004D2C: 0A692D34
	v_mul_f32_e32 v53, v53, v151                               // 000000004D30: 0A6B2F35
	v_mul_f32_e64 v50, v50, s6                                 // 000000004D34: D1050032 00000D32
	v_mul_f32_e64 v51, v51, s6                                 // 000000004D3C: D1050033 00000D33
	v_mul_f32_e64 v52, v52, s6                                 // 000000004D44: D1050034 00000D34
	v_mul_f32_e64 v53, v53, s6                                 // 000000004D4C: D1050035 00000D35
	v_exp_f32_e32 v50, v50                                     // 000000004D54: 7E644132
	v_exp_f32_e32 v51, v51                                     // 000000004D58: 7E664133
	v_exp_f32_e32 v52, v52                                     // 000000004D5C: 7E684134
	v_exp_f32_e32 v53, v53                                     // 000000004D60: 7E6A4135
	buffer_load_dwordx4 a[44:47], v45, s[12:15], 0 offen       // 000000004D64: E05C1000 80832C2D
	s_add_u32 s12, s78, s12                                    // 000000004D6C: 800C0C4E
	s_addc_u32 s13, 0, s13                                     // 000000004D70: 820D0D80
	v_add_f32_e64 v50, v50, 1.0                                // 000000004D74: D1010032 0001E532
	v_add_f32_e64 v51, v51, 1.0                                // 000000004D7C: D1010033 0001E533
	v_add_f32_e64 v52, v52, 1.0                                // 000000004D84: D1010034 0001E534
	v_add_f32_e64 v53, v53, 1.0                                // 000000004D8C: D1010035 0001E535
	v_rcp_f32_e32 v50, v50                                     // 000000004D94: 7E644532
	v_rcp_f32_e32 v51, v51                                     // 000000004D98: 7E664533
	v_rcp_f32_e32 v52, v52                                     // 000000004D9C: 7E684534
	v_rcp_f32_e32 v53, v53                                     // 000000004DA0: 7E6A4535
	v_mul_f32_e32 v148, v148, v50                              // 000000004DA4: 0B286594
	v_mul_f32_e32 v149, v149, v51                              // 000000004DA8: 0B2A6795
	v_mul_f32_e32 v150, v150, v52                              // 000000004DAC: 0B2C6996
	v_mul_f32_e32 v151, v151, v53                              // 000000004DB0: 0B2E6B97
	s_waitcnt vmcnt(28)                                        // 000000004DB4: BF8C4F7C
	buffer_load_dwordx4 a[48:51], v42, s[12:15], 0 offen       // 000000004DB8: E05C1000 8083302A
	v_mul_f32_e32 v50, v152, v152                              // 000000004DC0: 0A653198
	v_mul_f32_e32 v51, v153, v153                              // 000000004DC4: 0A673399
	v_mul_f32_e32 v52, v154, v154                              // 000000004DC8: 0A69359A
	v_mul_f32_e32 v53, v155, v155                              // 000000004DCC: 0A6B379B
	v_fma_f32 v50, v50, s77, v1                                // 000000004DD0: D1CB0032 04049B32
	v_fma_f32 v51, v51, s77, v1                                // 000000004DD8: D1CB0033 04049B33
	v_fma_f32 v52, v52, s77, v1                                // 000000004DE0: D1CB0034 04049B34
	v_fma_f32 v53, v53, s77, v1                                // 000000004DE8: D1CB0035 04049B35
	v_mul_f32_e32 v50, v50, v152                               // 000000004DF0: 0A653132
	v_mul_f32_e32 v51, v51, v153                               // 000000004DF4: 0A673333
	v_mul_f32_e32 v52, v52, v154                               // 000000004DF8: 0A693534
	v_mul_f32_e32 v53, v53, v155                               // 000000004DFC: 0A6B3735
	v_mul_f32_e64 v50, v50, s6                                 // 000000004E00: D1050032 00000D32
	v_mul_f32_e64 v51, v51, s6                                 // 000000004E08: D1050033 00000D33
	v_mul_f32_e64 v52, v52, s6                                 // 000000004E10: D1050034 00000D34
	v_mul_f32_e64 v53, v53, s6                                 // 000000004E18: D1050035 00000D35
	v_exp_f32_e32 v50, v50                                     // 000000004E20: 7E644132
	v_exp_f32_e32 v51, v51                                     // 000000004E24: 7E664133
	v_exp_f32_e32 v52, v52                                     // 000000004E28: 7E684134
	v_exp_f32_e32 v53, v53                                     // 000000004E2C: 7E6A4135
	buffer_load_dwordx4 a[52:55], v43, s[12:15], 0 offen       // 000000004E30: E05C1000 8083342B
	v_add_f32_e64 v50, v50, 1.0                                // 000000004E38: D1010032 0001E532
	v_add_f32_e64 v51, v51, 1.0                                // 000000004E40: D1010033 0001E533
	v_add_f32_e64 v52, v52, 1.0                                // 000000004E48: D1010034 0001E534
	v_add_f32_e64 v53, v53, 1.0                                // 000000004E50: D1010035 0001E535
	v_rcp_f32_e32 v50, v50                                     // 000000004E58: 7E644532
	v_rcp_f32_e32 v51, v51                                     // 000000004E5C: 7E664533
	v_rcp_f32_e32 v52, v52                                     // 000000004E60: 7E684534
	v_rcp_f32_e32 v53, v53                                     // 000000004E64: 7E6A4535
	v_mul_f32_e32 v152, v152, v50                              // 000000004E68: 0B306598
	v_mul_f32_e32 v153, v153, v51                              // 000000004E6C: 0B326799
	v_mul_f32_e32 v154, v154, v52                              // 000000004E70: 0B34699A
	v_mul_f32_e32 v155, v155, v53                              // 000000004E74: 0B366B9B
	buffer_load_dwordx4 a[56:59], v44, s[12:15], 0 offen       // 000000004E78: E05C1000 8083382C
	v_mul_f32_e32 v50, v156, v156                              // 000000004E80: 0A65399C
	v_mul_f32_e32 v51, v157, v157                              // 000000004E84: 0A673B9D
	v_mul_f32_e32 v52, v158, v158                              // 000000004E88: 0A693D9E
	v_mul_f32_e32 v53, v159, v159                              // 000000004E8C: 0A6B3F9F
	v_fma_f32 v50, v50, s77, v1                                // 000000004E90: D1CB0032 04049B32
	v_fma_f32 v51, v51, s77, v1                                // 000000004E98: D1CB0033 04049B33
	v_fma_f32 v52, v52, s77, v1                                // 000000004EA0: D1CB0034 04049B34
	v_fma_f32 v53, v53, s77, v1                                // 000000004EA8: D1CB0035 04049B35
	v_mul_f32_e32 v50, v50, v156                               // 000000004EB0: 0A653932
	v_mul_f32_e32 v51, v51, v157                               // 000000004EB4: 0A673B33
	v_mul_f32_e32 v52, v52, v158                               // 000000004EB8: 0A693D34
	v_mul_f32_e32 v53, v53, v159                               // 000000004EBC: 0A6B3F35
	v_mul_f32_e64 v50, v50, s6                                 // 000000004EC0: D1050032 00000D32
	v_mul_f32_e64 v51, v51, s6                                 // 000000004EC8: D1050033 00000D33
	v_mul_f32_e64 v52, v52, s6                                 // 000000004ED0: D1050034 00000D34
	v_mul_f32_e64 v53, v53, s6                                 // 000000004ED8: D1050035 00000D35
	v_exp_f32_e32 v50, v50                                     // 000000004EE0: 7E644132
	v_exp_f32_e32 v51, v51                                     // 000000004EE4: 7E664133
	v_exp_f32_e32 v52, v52                                     // 000000004EE8: 7E684134
	v_exp_f32_e32 v53, v53                                     // 000000004EEC: 7E6A4135
	buffer_load_dwordx4 a[60:63], v45, s[12:15], 0 offen       // 000000004EF0: E05C1000 80833C2D
	s_add_u32 s12, s78, s12                                    // 000000004EF8: 800C0C4E
	s_addc_u32 s13, 0, s13                                     // 000000004EFC: 820D0D80
	v_add_f32_e64 v50, v50, 1.0                                // 000000004F00: D1010032 0001E532
	v_add_f32_e64 v51, v51, 1.0                                // 000000004F08: D1010033 0001E533
	v_add_f32_e64 v52, v52, 1.0                                // 000000004F10: D1010034 0001E534
	v_add_f32_e64 v53, v53, 1.0                                // 000000004F18: D1010035 0001E535
	v_rcp_f32_e32 v50, v50                                     // 000000004F20: 7E644532
	v_rcp_f32_e32 v51, v51                                     // 000000004F24: 7E664533
	v_rcp_f32_e32 v52, v52                                     // 000000004F28: 7E684534
	v_rcp_f32_e32 v53, v53                                     // 000000004F2C: 7E6A4535
	v_mul_f32_e32 v156, v156, v50                              // 000000004F30: 0B38659C
	v_mul_f32_e32 v157, v157, v51                              // 000000004F34: 0B3A679D
	v_mul_f32_e32 v158, v158, v52                              // 000000004F38: 0B3C699E
	v_mul_f32_e32 v159, v159, v53                              // 000000004F3C: 0B3E6B9F
	s_waitcnt vmcnt(28)                                        // 000000004F40: BF8C4F7C
	buffer_load_dwordx4 a[64:67], v42, s[12:15], 0 offen       // 000000004F44: E05C1000 8083402A
	v_mul_f32_e32 v50, v160, v160                              // 000000004F4C: 0A6541A0
	v_mul_f32_e32 v51, v161, v161                              // 000000004F50: 0A6743A1
	v_mul_f32_e32 v52, v162, v162                              // 000000004F54: 0A6945A2
	v_mul_f32_e32 v53, v163, v163                              // 000000004F58: 0A6B47A3
	v_fma_f32 v50, v50, s77, v1                                // 000000004F5C: D1CB0032 04049B32
	v_fma_f32 v51, v51, s77, v1                                // 000000004F64: D1CB0033 04049B33
	v_fma_f32 v52, v52, s77, v1                                // 000000004F6C: D1CB0034 04049B34
	v_fma_f32 v53, v53, s77, v1                                // 000000004F74: D1CB0035 04049B35
	v_mul_f32_e32 v50, v50, v160                               // 000000004F7C: 0A654132
	v_mul_f32_e32 v51, v51, v161                               // 000000004F80: 0A674333
	v_mul_f32_e32 v52, v52, v162                               // 000000004F84: 0A694534
	v_mul_f32_e32 v53, v53, v163                               // 000000004F88: 0A6B4735
	v_mul_f32_e64 v50, v50, s6                                 // 000000004F8C: D1050032 00000D32
	v_mul_f32_e64 v51, v51, s6                                 // 000000004F94: D1050033 00000D33
	v_mul_f32_e64 v52, v52, s6                                 // 000000004F9C: D1050034 00000D34
	v_mul_f32_e64 v53, v53, s6                                 // 000000004FA4: D1050035 00000D35
	v_exp_f32_e32 v50, v50                                     // 000000004FAC: 7E644132
	v_exp_f32_e32 v51, v51                                     // 000000004FB0: 7E664133
	v_exp_f32_e32 v52, v52                                     // 000000004FB4: 7E684134
	v_exp_f32_e32 v53, v53                                     // 000000004FB8: 7E6A4135
	buffer_load_dwordx4 a[68:71], v43, s[12:15], 0 offen       // 000000004FBC: E05C1000 8083442B
	v_add_f32_e64 v50, v50, 1.0                                // 000000004FC4: D1010032 0001E532
	v_add_f32_e64 v51, v51, 1.0                                // 000000004FCC: D1010033 0001E533
	v_add_f32_e64 v52, v52, 1.0                                // 000000004FD4: D1010034 0001E534
	v_add_f32_e64 v53, v53, 1.0                                // 000000004FDC: D1010035 0001E535
	v_rcp_f32_e32 v50, v50                                     // 000000004FE4: 7E644532
	v_rcp_f32_e32 v51, v51                                     // 000000004FE8: 7E664533
	v_rcp_f32_e32 v52, v52                                     // 000000004FEC: 7E684534
	v_rcp_f32_e32 v53, v53                                     // 000000004FF0: 7E6A4535
	v_mul_f32_e32 v160, v160, v50                              // 000000004FF4: 0B4065A0
	v_mul_f32_e32 v161, v161, v51                              // 000000004FF8: 0B4267A1
	v_mul_f32_e32 v162, v162, v52                              // 000000004FFC: 0B4469A2
	v_mul_f32_e32 v163, v163, v53                              // 000000005000: 0B466BA3
	buffer_load_dwordx4 a[72:75], v44, s[12:15], 0 offen       // 000000005004: E05C1000 8083482C
	v_mul_f32_e32 v50, v164, v164                              // 00000000500C: 0A6549A4
	v_mul_f32_e32 v51, v165, v165                              // 000000005010: 0A674BA5
	v_mul_f32_e32 v52, v166, v166                              // 000000005014: 0A694DA6
	v_mul_f32_e32 v53, v167, v167                              // 000000005018: 0A6B4FA7
	v_fma_f32 v50, v50, s77, v1                                // 00000000501C: D1CB0032 04049B32
	v_fma_f32 v51, v51, s77, v1                                // 000000005024: D1CB0033 04049B33
	v_fma_f32 v52, v52, s77, v1                                // 00000000502C: D1CB0034 04049B34
	v_fma_f32 v53, v53, s77, v1                                // 000000005034: D1CB0035 04049B35
	v_mul_f32_e32 v50, v50, v164                               // 00000000503C: 0A654932
	v_mul_f32_e32 v51, v51, v165                               // 000000005040: 0A674B33
	v_mul_f32_e32 v52, v52, v166                               // 000000005044: 0A694D34
	v_mul_f32_e32 v53, v53, v167                               // 000000005048: 0A6B4F35
	v_mul_f32_e64 v50, v50, s6                                 // 00000000504C: D1050032 00000D32
	v_mul_f32_e64 v51, v51, s6                                 // 000000005054: D1050033 00000D33
	v_mul_f32_e64 v52, v52, s6                                 // 00000000505C: D1050034 00000D34
	v_mul_f32_e64 v53, v53, s6                                 // 000000005064: D1050035 00000D35
	v_exp_f32_e32 v50, v50                                     // 00000000506C: 7E644132
	v_exp_f32_e32 v51, v51                                     // 000000005070: 7E664133
	v_exp_f32_e32 v52, v52                                     // 000000005074: 7E684134
	v_exp_f32_e32 v53, v53                                     // 000000005078: 7E6A4135
	buffer_load_dwordx4 a[76:79], v45, s[12:15], 0 offen       // 00000000507C: E05C1000 80834C2D
	s_add_u32 s12, s78, s12                                    // 000000005084: 800C0C4E
	s_addc_u32 s13, 0, s13                                     // 000000005088: 820D0D80
	v_add_f32_e64 v50, v50, 1.0                                // 00000000508C: D1010032 0001E532
	v_add_f32_e64 v51, v51, 1.0                                // 000000005094: D1010033 0001E533
	v_add_f32_e64 v52, v52, 1.0                                // 00000000509C: D1010034 0001E534
	v_add_f32_e64 v53, v53, 1.0                                // 0000000050A4: D1010035 0001E535
	v_rcp_f32_e32 v50, v50                                     // 0000000050AC: 7E644532
	v_rcp_f32_e32 v51, v51                                     // 0000000050B0: 7E664533
	v_rcp_f32_e32 v52, v52                                     // 0000000050B4: 7E684534
	v_rcp_f32_e32 v53, v53                                     // 0000000050B8: 7E6A4535
	v_mul_f32_e32 v164, v164, v50                              // 0000000050BC: 0B4865A4
	v_mul_f32_e32 v165, v165, v51                              // 0000000050C0: 0B4A67A5
	v_mul_f32_e32 v166, v166, v52                              // 0000000050C4: 0B4C69A6
	v_mul_f32_e32 v167, v167, v53                              // 0000000050C8: 0B4E6BA7
	s_waitcnt vmcnt(28)                                        // 0000000050CC: BF8C4F7C
	buffer_load_dwordx4 a[80:83], v42, s[12:15], 0 offen       // 0000000050D0: E05C1000 8083502A
	v_mul_f32_e32 v50, v168, v168                              // 0000000050D8: 0A6551A8
	v_mul_f32_e32 v51, v169, v169                              // 0000000050DC: 0A6753A9
	v_mul_f32_e32 v52, v170, v170                              // 0000000050E0: 0A6955AA
	v_mul_f32_e32 v53, v171, v171                              // 0000000050E4: 0A6B57AB
	v_fma_f32 v50, v50, s77, v1                                // 0000000050E8: D1CB0032 04049B32
	v_fma_f32 v51, v51, s77, v1                                // 0000000050F0: D1CB0033 04049B33
	v_fma_f32 v52, v52, s77, v1                                // 0000000050F8: D1CB0034 04049B34
	v_fma_f32 v53, v53, s77, v1                                // 000000005100: D1CB0035 04049B35
	v_mul_f32_e32 v50, v50, v168                               // 000000005108: 0A655132
	v_mul_f32_e32 v51, v51, v169                               // 00000000510C: 0A675333
	v_mul_f32_e32 v52, v52, v170                               // 000000005110: 0A695534
	v_mul_f32_e32 v53, v53, v171                               // 000000005114: 0A6B5735
	v_mul_f32_e64 v50, v50, s6                                 // 000000005118: D1050032 00000D32
	v_mul_f32_e64 v51, v51, s6                                 // 000000005120: D1050033 00000D33
	v_mul_f32_e64 v52, v52, s6                                 // 000000005128: D1050034 00000D34
	v_mul_f32_e64 v53, v53, s6                                 // 000000005130: D1050035 00000D35
	v_exp_f32_e32 v50, v50                                     // 000000005138: 7E644132
	v_exp_f32_e32 v51, v51                                     // 00000000513C: 7E664133
	v_exp_f32_e32 v52, v52                                     // 000000005140: 7E684134
	v_exp_f32_e32 v53, v53                                     // 000000005144: 7E6A4135
	buffer_load_dwordx4 a[84:87], v43, s[12:15], 0 offen       // 000000005148: E05C1000 8083542B
	v_add_f32_e64 v50, v50, 1.0                                // 000000005150: D1010032 0001E532
	v_add_f32_e64 v51, v51, 1.0                                // 000000005158: D1010033 0001E533
	v_add_f32_e64 v52, v52, 1.0                                // 000000005160: D1010034 0001E534
	v_add_f32_e64 v53, v53, 1.0                                // 000000005168: D1010035 0001E535
	v_rcp_f32_e32 v50, v50                                     // 000000005170: 7E644532
	v_rcp_f32_e32 v51, v51                                     // 000000005174: 7E664533
	v_rcp_f32_e32 v52, v52                                     // 000000005178: 7E684534
	v_rcp_f32_e32 v53, v53                                     // 00000000517C: 7E6A4535
	v_mul_f32_e32 v168, v168, v50                              // 000000005180: 0B5065A8
	v_mul_f32_e32 v169, v169, v51                              // 000000005184: 0B5267A9
	v_mul_f32_e32 v170, v170, v52                              // 000000005188: 0B5469AA
	v_mul_f32_e32 v171, v171, v53                              // 00000000518C: 0B566BAB
	buffer_load_dwordx4 a[88:91], v44, s[12:15], 0 offen       // 000000005190: E05C1000 8083582C
	v_mul_f32_e32 v50, v172, v172                              // 000000005198: 0A6559AC
	v_mul_f32_e32 v51, v173, v173                              // 00000000519C: 0A675BAD
	v_mul_f32_e32 v52, v174, v174                              // 0000000051A0: 0A695DAE
	v_mul_f32_e32 v53, v175, v175                              // 0000000051A4: 0A6B5FAF
	v_fma_f32 v50, v50, s77, v1                                // 0000000051A8: D1CB0032 04049B32
	v_fma_f32 v51, v51, s77, v1                                // 0000000051B0: D1CB0033 04049B33
	v_fma_f32 v52, v52, s77, v1                                // 0000000051B8: D1CB0034 04049B34
	v_fma_f32 v53, v53, s77, v1                                // 0000000051C0: D1CB0035 04049B35
	v_mul_f32_e32 v50, v50, v172                               // 0000000051C8: 0A655932
	v_mul_f32_e32 v51, v51, v173                               // 0000000051CC: 0A675B33
	v_mul_f32_e32 v52, v52, v174                               // 0000000051D0: 0A695D34
	v_mul_f32_e32 v53, v53, v175                               // 0000000051D4: 0A6B5F35
	v_mul_f32_e64 v50, v50, s6                                 // 0000000051D8: D1050032 00000D32
	v_mul_f32_e64 v51, v51, s6                                 // 0000000051E0: D1050033 00000D33
	v_mul_f32_e64 v52, v52, s6                                 // 0000000051E8: D1050034 00000D34
	v_mul_f32_e64 v53, v53, s6                                 // 0000000051F0: D1050035 00000D35
	v_exp_f32_e32 v50, v50                                     // 0000000051F8: 7E644132
	v_exp_f32_e32 v51, v51                                     // 0000000051FC: 7E664133
	v_exp_f32_e32 v52, v52                                     // 000000005200: 7E684134
	v_exp_f32_e32 v53, v53                                     // 000000005204: 7E6A4135
	buffer_load_dwordx4 a[92:95], v45, s[12:15], 0 offen       // 000000005208: E05C1000 80835C2D
	s_add_u32 s12, s78, s12                                    // 000000005210: 800C0C4E
	s_addc_u32 s13, 0, s13                                     // 000000005214: 820D0D80
	v_add_f32_e64 v50, v50, 1.0                                // 000000005218: D1010032 0001E532
	v_add_f32_e64 v51, v51, 1.0                                // 000000005220: D1010033 0001E533
	v_add_f32_e64 v52, v52, 1.0                                // 000000005228: D1010034 0001E534
	v_add_f32_e64 v53, v53, 1.0                                // 000000005230: D1010035 0001E535
	v_rcp_f32_e32 v50, v50                                     // 000000005238: 7E644532
	v_rcp_f32_e32 v51, v51                                     // 00000000523C: 7E664533
	v_rcp_f32_e32 v52, v52                                     // 000000005240: 7E684534
	v_rcp_f32_e32 v53, v53                                     // 000000005244: 7E6A4535
	v_mul_f32_e32 v172, v172, v50                              // 000000005248: 0B5865AC
	v_mul_f32_e32 v173, v173, v51                              // 00000000524C: 0B5A67AD
	v_mul_f32_e32 v174, v174, v52                              // 000000005250: 0B5C69AE
	v_mul_f32_e32 v175, v175, v53                              // 000000005254: 0B5E6BAF
	s_waitcnt vmcnt(28)                                        // 000000005258: BF8C4F7C
	buffer_load_dwordx4 a[96:99], v42, s[12:15], 0 offen       // 00000000525C: E05C1000 8083602A
	v_mul_f32_e32 v50, v176, v176                              // 000000005264: 0A6561B0
	v_mul_f32_e32 v51, v177, v177                              // 000000005268: 0A6763B1
	v_mul_f32_e32 v52, v178, v178                              // 00000000526C: 0A6965B2
	v_mul_f32_e32 v53, v179, v179                              // 000000005270: 0A6B67B3
	v_fma_f32 v50, v50, s77, v1                                // 000000005274: D1CB0032 04049B32
	v_fma_f32 v51, v51, s77, v1                                // 00000000527C: D1CB0033 04049B33
	v_fma_f32 v52, v52, s77, v1                                // 000000005284: D1CB0034 04049B34
	v_fma_f32 v53, v53, s77, v1                                // 00000000528C: D1CB0035 04049B35
	v_mul_f32_e32 v50, v50, v176                               // 000000005294: 0A656132
	v_mul_f32_e32 v51, v51, v177                               // 000000005298: 0A676333
	v_mul_f32_e32 v52, v52, v178                               // 00000000529C: 0A696534
	v_mul_f32_e32 v53, v53, v179                               // 0000000052A0: 0A6B6735
	v_mul_f32_e64 v50, v50, s6                                 // 0000000052A4: D1050032 00000D32
	v_mul_f32_e64 v51, v51, s6                                 // 0000000052AC: D1050033 00000D33
	v_mul_f32_e64 v52, v52, s6                                 // 0000000052B4: D1050034 00000D34
	v_mul_f32_e64 v53, v53, s6                                 // 0000000052BC: D1050035 00000D35
	v_exp_f32_e32 v50, v50                                     // 0000000052C4: 7E644132
	v_exp_f32_e32 v51, v51                                     // 0000000052C8: 7E664133
	v_exp_f32_e32 v52, v52                                     // 0000000052CC: 7E684134
	v_exp_f32_e32 v53, v53                                     // 0000000052D0: 7E6A4135
	buffer_load_dwordx4 a[100:103], v43, s[12:15], 0 offen     // 0000000052D4: E05C1000 8083642B
	v_add_f32_e64 v50, v50, 1.0                                // 0000000052DC: D1010032 0001E532
	v_add_f32_e64 v51, v51, 1.0                                // 0000000052E4: D1010033 0001E533
	v_add_f32_e64 v52, v52, 1.0                                // 0000000052EC: D1010034 0001E534
	v_add_f32_e64 v53, v53, 1.0                                // 0000000052F4: D1010035 0001E535
	v_rcp_f32_e32 v50, v50                                     // 0000000052FC: 7E644532
	v_rcp_f32_e32 v51, v51                                     // 000000005300: 7E664533
	v_rcp_f32_e32 v52, v52                                     // 000000005304: 7E684534
	v_rcp_f32_e32 v53, v53                                     // 000000005308: 7E6A4535
	v_mul_f32_e32 v176, v176, v50                              // 00000000530C: 0B6065B0
	v_mul_f32_e32 v177, v177, v51                              // 000000005310: 0B6267B1
	v_mul_f32_e32 v178, v178, v52                              // 000000005314: 0B6469B2
	v_mul_f32_e32 v179, v179, v53                              // 000000005318: 0B666BB3
	buffer_load_dwordx4 a[104:107], v44, s[12:15], 0 offen     // 00000000531C: E05C1000 8083682C
	v_mul_f32_e32 v50, v180, v180                              // 000000005324: 0A6569B4
	v_mul_f32_e32 v51, v181, v181                              // 000000005328: 0A676BB5
	v_mul_f32_e32 v52, v182, v182                              // 00000000532C: 0A696DB6
	v_mul_f32_e32 v53, v183, v183                              // 000000005330: 0A6B6FB7
	v_fma_f32 v50, v50, s77, v1                                // 000000005334: D1CB0032 04049B32
	v_fma_f32 v51, v51, s77, v1                                // 00000000533C: D1CB0033 04049B33
	v_fma_f32 v52, v52, s77, v1                                // 000000005344: D1CB0034 04049B34
	v_fma_f32 v53, v53, s77, v1                                // 00000000534C: D1CB0035 04049B35
	v_mul_f32_e32 v50, v50, v180                               // 000000005354: 0A656932
	v_mul_f32_e32 v51, v51, v181                               // 000000005358: 0A676B33
	v_mul_f32_e32 v52, v52, v182                               // 00000000535C: 0A696D34
	v_mul_f32_e32 v53, v53, v183                               // 000000005360: 0A6B6F35
	v_mul_f32_e64 v50, v50, s6                                 // 000000005364: D1050032 00000D32
	v_mul_f32_e64 v51, v51, s6                                 // 00000000536C: D1050033 00000D33
	v_mul_f32_e64 v52, v52, s6                                 // 000000005374: D1050034 00000D34
	v_mul_f32_e64 v53, v53, s6                                 // 00000000537C: D1050035 00000D35
	v_exp_f32_e32 v50, v50                                     // 000000005384: 7E644132
	v_exp_f32_e32 v51, v51                                     // 000000005388: 7E664133
	v_exp_f32_e32 v52, v52                                     // 00000000538C: 7E684134
	v_exp_f32_e32 v53, v53                                     // 000000005390: 7E6A4135
	buffer_load_dwordx4 a[108:111], v45, s[12:15], 0 offen     // 000000005394: E05C1000 80836C2D
	s_add_u32 s12, s78, s12                                    // 00000000539C: 800C0C4E
	s_addc_u32 s13, 0, s13                                     // 0000000053A0: 820D0D80
	v_add_f32_e64 v50, v50, 1.0                                // 0000000053A4: D1010032 0001E532
	v_add_f32_e64 v51, v51, 1.0                                // 0000000053AC: D1010033 0001E533
	v_add_f32_e64 v52, v52, 1.0                                // 0000000053B4: D1010034 0001E534
	v_add_f32_e64 v53, v53, 1.0                                // 0000000053BC: D1010035 0001E535
	v_rcp_f32_e32 v50, v50                                     // 0000000053C4: 7E644532
	v_rcp_f32_e32 v51, v51                                     // 0000000053C8: 7E664533
	v_rcp_f32_e32 v52, v52                                     // 0000000053CC: 7E684534
	v_rcp_f32_e32 v53, v53                                     // 0000000053D0: 7E6A4535
	v_mul_f32_e32 v180, v180, v50                              // 0000000053D4: 0B6865B4
	v_mul_f32_e32 v181, v181, v51                              // 0000000053D8: 0B6A67B5
	v_mul_f32_e32 v182, v182, v52                              // 0000000053DC: 0B6C69B6
	v_mul_f32_e32 v183, v183, v53                              // 0000000053E0: 0B6E6BB7
	s_waitcnt vmcnt(28)                                        // 0000000053E4: BF8C4F7C
	buffer_load_dwordx4 a[112:115], v42, s[12:15], 0 offen     // 0000000053E8: E05C1000 8083702A
	v_mul_f32_e32 v50, v184, v184                              // 0000000053F0: 0A6571B8
	v_mul_f32_e32 v51, v185, v185                              // 0000000053F4: 0A6773B9
	v_mul_f32_e32 v52, v186, v186                              // 0000000053F8: 0A6975BA
	v_mul_f32_e32 v53, v187, v187                              // 0000000053FC: 0A6B77BB
	v_fma_f32 v50, v50, s77, v1                                // 000000005400: D1CB0032 04049B32
	v_fma_f32 v51, v51, s77, v1                                // 000000005408: D1CB0033 04049B33
	v_fma_f32 v52, v52, s77, v1                                // 000000005410: D1CB0034 04049B34
	v_fma_f32 v53, v53, s77, v1                                // 000000005418: D1CB0035 04049B35
	v_mul_f32_e32 v50, v50, v184                               // 000000005420: 0A657132
	v_mul_f32_e32 v51, v51, v185                               // 000000005424: 0A677333
	v_mul_f32_e32 v52, v52, v186                               // 000000005428: 0A697534
	v_mul_f32_e32 v53, v53, v187                               // 00000000542C: 0A6B7735
	v_mul_f32_e64 v50, v50, s6                                 // 000000005430: D1050032 00000D32
	v_mul_f32_e64 v51, v51, s6                                 // 000000005438: D1050033 00000D33
	v_mul_f32_e64 v52, v52, s6                                 // 000000005440: D1050034 00000D34
	v_mul_f32_e64 v53, v53, s6                                 // 000000005448: D1050035 00000D35
	v_exp_f32_e32 v50, v50                                     // 000000005450: 7E644132
	v_exp_f32_e32 v51, v51                                     // 000000005454: 7E664133
	v_exp_f32_e32 v52, v52                                     // 000000005458: 7E684134
	v_exp_f32_e32 v53, v53                                     // 00000000545C: 7E6A4135
	buffer_load_dwordx4 a[116:119], v43, s[12:15], 0 offen     // 000000005460: E05C1000 8083742B
	v_add_f32_e64 v50, v50, 1.0                                // 000000005468: D1010032 0001E532
	v_add_f32_e64 v51, v51, 1.0                                // 000000005470: D1010033 0001E533
	v_add_f32_e64 v52, v52, 1.0                                // 000000005478: D1010034 0001E534
	v_add_f32_e64 v53, v53, 1.0                                // 000000005480: D1010035 0001E535
	v_rcp_f32_e32 v50, v50                                     // 000000005488: 7E644532
	v_rcp_f32_e32 v51, v51                                     // 00000000548C: 7E664533
	v_rcp_f32_e32 v52, v52                                     // 000000005490: 7E684534
	v_rcp_f32_e32 v53, v53                                     // 000000005494: 7E6A4535
	v_mul_f32_e32 v184, v184, v50                              // 000000005498: 0B7065B8
	v_mul_f32_e32 v185, v185, v51                              // 00000000549C: 0B7267B9
	v_mul_f32_e32 v186, v186, v52                              // 0000000054A0: 0B7469BA
	v_mul_f32_e32 v187, v187, v53                              // 0000000054A4: 0B766BBB
	buffer_load_dwordx4 a[120:123], v44, s[12:15], 0 offen     // 0000000054A8: E05C1000 8083782C
	v_mul_f32_e32 v50, v188, v188                              // 0000000054B0: 0A6579BC
	v_mul_f32_e32 v51, v189, v189                              // 0000000054B4: 0A677BBD
	v_mul_f32_e32 v52, v190, v190                              // 0000000054B8: 0A697DBE
	v_mul_f32_e32 v53, v191, v191                              // 0000000054BC: 0A6B7FBF
	v_fma_f32 v50, v50, s77, v1                                // 0000000054C0: D1CB0032 04049B32
	v_fma_f32 v51, v51, s77, v1                                // 0000000054C8: D1CB0033 04049B33
	v_fma_f32 v52, v52, s77, v1                                // 0000000054D0: D1CB0034 04049B34
	v_fma_f32 v53, v53, s77, v1                                // 0000000054D8: D1CB0035 04049B35
	v_mul_f32_e32 v50, v50, v188                               // 0000000054E0: 0A657932
	v_mul_f32_e32 v51, v51, v189                               // 0000000054E4: 0A677B33
	v_mul_f32_e32 v52, v52, v190                               // 0000000054E8: 0A697D34
	v_mul_f32_e32 v53, v53, v191                               // 0000000054EC: 0A6B7F35
	v_mul_f32_e64 v50, v50, s6                                 // 0000000054F0: D1050032 00000D32
	v_mul_f32_e64 v51, v51, s6                                 // 0000000054F8: D1050033 00000D33
	v_mul_f32_e64 v52, v52, s6                                 // 000000005500: D1050034 00000D34
	v_mul_f32_e64 v53, v53, s6                                 // 000000005508: D1050035 00000D35
	v_exp_f32_e32 v50, v50                                     // 000000005510: 7E644132
	v_exp_f32_e32 v51, v51                                     // 000000005514: 7E664133
	v_exp_f32_e32 v52, v52                                     // 000000005518: 7E684134
	v_exp_f32_e32 v53, v53                                     // 00000000551C: 7E6A4135
	buffer_load_dwordx4 a[124:127], v45, s[12:15], 0 offen     // 000000005520: E05C1000 80837C2D
	v_add_f32_e64 v50, v50, 1.0                                // 000000005528: D1010032 0001E532
	v_add_f32_e64 v51, v51, 1.0                                // 000000005530: D1010033 0001E533
	v_add_f32_e64 v52, v52, 1.0                                // 000000005538: D1010034 0001E534
	v_add_f32_e64 v53, v53, 1.0                                // 000000005540: D1010035 0001E535
	v_rcp_f32_e32 v50, v50                                     // 000000005548: 7E644532
	v_rcp_f32_e32 v51, v51                                     // 00000000554C: 7E664533
	v_rcp_f32_e32 v52, v52                                     // 000000005550: 7E684534
	v_rcp_f32_e32 v53, v53                                     // 000000005554: 7E6A4535
	v_mul_f32_e32 v188, v188, v50                              // 000000005558: 0B7865BC
	v_mul_f32_e32 v189, v189, v51                              // 00000000555C: 0B7A67BD
	v_mul_f32_e32 v190, v190, v52                              // 000000005560: 0B7C69BE
	v_mul_f32_e32 v191, v191, v53                              // 000000005564: 0B7E6BBF
	v_mul_f32_dpp v128, v18, v128 row_newbcast:0 row_mask:0xf bank_mask:0xf// 000000005568: 0B0100FA FF015012
	v_mul_f32_dpp v129, v18, v129 row_newbcast:1 row_mask:0xf bank_mask:0xf// 000000005570: 0B0302FA FF015112
	v_mul_f32_dpp v130, v18, v130 row_newbcast:2 row_mask:0xf bank_mask:0xf// 000000005578: 0B0504FA FF015212
	v_mul_f32_dpp v131, v18, v131 row_newbcast:3 row_mask:0xf bank_mask:0xf// 000000005580: 0B0706FA FF015312
	v_mul_f32_dpp v132, v18, v132 row_newbcast:0 row_mask:0xf bank_mask:0xf// 000000005588: 0B0908FA FF015012
	v_mul_f32_dpp v133, v18, v133 row_newbcast:1 row_mask:0xf bank_mask:0xf// 000000005590: 0B0B0AFA FF015112
	v_mul_f32_dpp v134, v18, v134 row_newbcast:2 row_mask:0xf bank_mask:0xf// 000000005598: 0B0D0CFA FF015212
	v_mul_f32_dpp v135, v18, v135 row_newbcast:3 row_mask:0xf bank_mask:0xf// 0000000055A0: 0B0F0EFA FF015312
	v_mul_f32_dpp v136, v18, v136 row_newbcast:4 row_mask:0xf bank_mask:0xf// 0000000055A8: 0B1110FA FF015412
	v_mul_f32_dpp v137, v18, v137 row_newbcast:5 row_mask:0xf bank_mask:0xf// 0000000055B0: 0B1312FA FF015512
	v_mul_f32_dpp v138, v18, v138 row_newbcast:6 row_mask:0xf bank_mask:0xf// 0000000055B8: 0B1514FA FF015612
	v_mul_f32_dpp v139, v18, v139 row_newbcast:7 row_mask:0xf bank_mask:0xf// 0000000055C0: 0B1716FA FF015712
	v_mul_f32_dpp v140, v18, v140 row_newbcast:4 row_mask:0xf bank_mask:0xf// 0000000055C8: 0B1918FA FF015412
	v_mul_f32_dpp v141, v18, v141 row_newbcast:5 row_mask:0xf bank_mask:0xf// 0000000055D0: 0B1B1AFA FF015512
	v_mul_f32_dpp v142, v18, v142 row_newbcast:6 row_mask:0xf bank_mask:0xf// 0000000055D8: 0B1D1CFA FF015612
	v_mul_f32_dpp v143, v18, v143 row_newbcast:7 row_mask:0xf bank_mask:0xf// 0000000055E0: 0B1F1EFA FF015712
	v_mul_f32_dpp v144, v18, v144 row_newbcast:8 row_mask:0xf bank_mask:0xf// 0000000055E8: 0B2120FA FF015812
	v_mul_f32_dpp v145, v18, v145 row_newbcast:9 row_mask:0xf bank_mask:0xf// 0000000055F0: 0B2322FA FF015912
	v_mul_f32_dpp v146, v18, v146 row_newbcast:10 row_mask:0xf bank_mask:0xf// 0000000055F8: 0B2524FA FF015A12
	v_mul_f32_dpp v147, v18, v147 row_newbcast:11 row_mask:0xf bank_mask:0xf// 000000005600: 0B2726FA FF015B12
	v_mul_f32_dpp v148, v18, v148 row_newbcast:8 row_mask:0xf bank_mask:0xf// 000000005608: 0B2928FA FF015812
	v_mul_f32_dpp v149, v18, v149 row_newbcast:9 row_mask:0xf bank_mask:0xf// 000000005610: 0B2B2AFA FF015912
	v_mul_f32_dpp v150, v18, v150 row_newbcast:10 row_mask:0xf bank_mask:0xf// 000000005618: 0B2D2CFA FF015A12
	v_mul_f32_dpp v151, v18, v151 row_newbcast:11 row_mask:0xf bank_mask:0xf// 000000005620: 0B2F2EFA FF015B12
	v_mul_f32_dpp v152, v18, v152 row_newbcast:12 row_mask:0xf bank_mask:0xf// 000000005628: 0B3130FA FF015C12
	v_mul_f32_dpp v153, v18, v153 row_newbcast:13 row_mask:0xf bank_mask:0xf// 000000005630: 0B3332FA FF015D12
	v_mul_f32_dpp v154, v18, v154 row_newbcast:14 row_mask:0xf bank_mask:0xf// 000000005638: 0B3534FA FF015E12
	v_mul_f32_dpp v155, v18, v155 row_newbcast:15 row_mask:0xf bank_mask:0xf// 000000005640: 0B3736FA FF015F12
	v_mul_f32_dpp v156, v18, v156 row_newbcast:12 row_mask:0xf bank_mask:0xf// 000000005648: 0B3938FA FF015C12
	v_mul_f32_dpp v157, v18, v157 row_newbcast:13 row_mask:0xf bank_mask:0xf// 000000005650: 0B3B3AFA FF015D12
	v_mul_f32_dpp v158, v18, v158 row_newbcast:14 row_mask:0xf bank_mask:0xf// 000000005658: 0B3D3CFA FF015E12
	v_mul_f32_dpp v159, v18, v159 row_newbcast:15 row_mask:0xf bank_mask:0xf// 000000005660: 0B3F3EFA FF015F12
	v_mul_f32_dpp v160, v19, v160 row_newbcast:0 row_mask:0xf bank_mask:0xf// 000000005668: 0B4140FA FF015013
	v_mul_f32_dpp v161, v19, v161 row_newbcast:1 row_mask:0xf bank_mask:0xf// 000000005670: 0B4342FA FF015113
	v_mul_f32_dpp v162, v19, v162 row_newbcast:2 row_mask:0xf bank_mask:0xf// 000000005678: 0B4544FA FF015213
	v_mul_f32_dpp v163, v19, v163 row_newbcast:3 row_mask:0xf bank_mask:0xf// 000000005680: 0B4746FA FF015313
	v_mul_f32_dpp v164, v19, v164 row_newbcast:0 row_mask:0xf bank_mask:0xf// 000000005688: 0B4948FA FF015013
	v_mul_f32_dpp v165, v19, v165 row_newbcast:1 row_mask:0xf bank_mask:0xf// 000000005690: 0B4B4AFA FF015113
	v_mul_f32_dpp v166, v19, v166 row_newbcast:2 row_mask:0xf bank_mask:0xf// 000000005698: 0B4D4CFA FF015213
	v_mul_f32_dpp v167, v19, v167 row_newbcast:3 row_mask:0xf bank_mask:0xf// 0000000056A0: 0B4F4EFA FF015313
	v_mul_f32_dpp v168, v19, v168 row_newbcast:4 row_mask:0xf bank_mask:0xf// 0000000056A8: 0B5150FA FF015413
	v_mul_f32_dpp v169, v19, v169 row_newbcast:5 row_mask:0xf bank_mask:0xf// 0000000056B0: 0B5352FA FF015513
	v_mul_f32_dpp v170, v19, v170 row_newbcast:6 row_mask:0xf bank_mask:0xf// 0000000056B8: 0B5554FA FF015613
	v_mul_f32_dpp v171, v19, v171 row_newbcast:7 row_mask:0xf bank_mask:0xf// 0000000056C0: 0B5756FA FF015713
	v_mul_f32_dpp v172, v19, v172 row_newbcast:4 row_mask:0xf bank_mask:0xf// 0000000056C8: 0B5958FA FF015413
	v_mul_f32_dpp v173, v19, v173 row_newbcast:5 row_mask:0xf bank_mask:0xf// 0000000056D0: 0B5B5AFA FF015513
	v_mul_f32_dpp v174, v19, v174 row_newbcast:6 row_mask:0xf bank_mask:0xf// 0000000056D8: 0B5D5CFA FF015613
	v_mul_f32_dpp v175, v19, v175 row_newbcast:7 row_mask:0xf bank_mask:0xf// 0000000056E0: 0B5F5EFA FF015713
	v_mul_f32_dpp v176, v19, v176 row_newbcast:8 row_mask:0xf bank_mask:0xf// 0000000056E8: 0B6160FA FF015813
	v_mul_f32_dpp v177, v19, v177 row_newbcast:9 row_mask:0xf bank_mask:0xf// 0000000056F0: 0B6362FA FF015913
	v_mul_f32_dpp v178, v19, v178 row_newbcast:10 row_mask:0xf bank_mask:0xf// 0000000056F8: 0B6564FA FF015A13
	v_mul_f32_dpp v179, v19, v179 row_newbcast:11 row_mask:0xf bank_mask:0xf// 000000005700: 0B6766FA FF015B13
	v_mul_f32_dpp v180, v19, v180 row_newbcast:8 row_mask:0xf bank_mask:0xf// 000000005708: 0B6968FA FF015813
	v_mul_f32_dpp v181, v19, v181 row_newbcast:9 row_mask:0xf bank_mask:0xf// 000000005710: 0B6B6AFA FF015913
	v_mul_f32_dpp v182, v19, v182 row_newbcast:10 row_mask:0xf bank_mask:0xf// 000000005718: 0B6D6CFA FF015A13
	v_mul_f32_dpp v183, v19, v183 row_newbcast:11 row_mask:0xf bank_mask:0xf// 000000005720: 0B6F6EFA FF015B13
	v_mul_f32_dpp v184, v19, v184 row_newbcast:12 row_mask:0xf bank_mask:0xf// 000000005728: 0B7170FA FF015C13
	v_mul_f32_dpp v185, v19, v185 row_newbcast:13 row_mask:0xf bank_mask:0xf// 000000005730: 0B7372FA FF015D13
	v_mul_f32_dpp v186, v19, v186 row_newbcast:14 row_mask:0xf bank_mask:0xf// 000000005738: 0B7574FA FF015E13
	v_mul_f32_dpp v187, v19, v187 row_newbcast:15 row_mask:0xf bank_mask:0xf// 000000005740: 0B7776FA FF015F13
	v_mul_f32_dpp v188, v19, v188 row_newbcast:12 row_mask:0xf bank_mask:0xf// 000000005748: 0B7978FA FF015C13
	v_mul_f32_dpp v189, v19, v189 row_newbcast:13 row_mask:0xf bank_mask:0xf// 000000005750: 0B7B7AFA FF015D13
	v_mul_f32_dpp v190, v19, v190 row_newbcast:14 row_mask:0xf bank_mask:0xf// 000000005758: 0B7D7CFA FF015E13
	v_mul_f32_dpp v191, v19, v191 row_newbcast:15 row_mask:0xf bank_mask:0xf// 000000005760: 0B7F7EFA FF015F13
	buffer_load_dword v12, v5, s[16:19], 0 offen               // 000000005768: E0501000 80040C05
	v_mov_b32_e32 v22, 0x358637bd                              // 000000005770: 7E2C02FF 358637BD
	v_mov_b32_e32 v23, 0x358637bd                              // 000000005778: 7E2E02FF 358637BD
	v_max3_f32 v22, |v128|, |v129|, v22                        // 000000005780: D1D30316 045B0380
	v_max3_f32 v22, |v130|, |v131|, v22                        // 000000005788: D1D30316 045B0782
	v_max3_f32 v23, |v132|, |v133|, v23                        // 000000005790: D1D30317 045F0B84
	v_max3_f32 v23, |v134|, |v135|, v23                        // 000000005798: D1D30317 045F0F86
	v_max3_f32 v22, |v136|, |v137|, v22                        // 0000000057A0: D1D30316 045B1388
	v_max3_f32 v22, |v138|, |v139|, v22                        // 0000000057A8: D1D30316 045B178A
	v_max3_f32 v23, |v140|, |v141|, v23                        // 0000000057B0: D1D30317 045F1B8C
	v_max3_f32 v23, |v142|, |v143|, v23                        // 0000000057B8: D1D30317 045F1F8E
	v_max3_f32 v22, |v144|, |v145|, v22                        // 0000000057C0: D1D30316 045B2390
	v_max3_f32 v22, |v146|, |v147|, v22                        // 0000000057C8: D1D30316 045B2792
	v_max3_f32 v23, |v148|, |v149|, v23                        // 0000000057D0: D1D30317 045F2B94
	v_max3_f32 v23, |v150|, |v151|, v23                        // 0000000057D8: D1D30317 045F2F96
	v_max3_f32 v22, |v152|, |v153|, v22                        // 0000000057E0: D1D30316 045B3398
	v_max3_f32 v22, |v154|, |v155|, v22                        // 0000000057E8: D1D30316 045B379A
	v_max3_f32 v23, |v156|, |v157|, v23                        // 0000000057F0: D1D30317 045F3B9C
	v_max3_f32 v23, |v158|, |v159|, v23                        // 0000000057F8: D1D30317 045F3F9E
	v_max3_f32 v22, |v160|, |v161|, v22                        // 000000005800: D1D30316 045B43A0
	v_max3_f32 v22, |v162|, |v163|, v22                        // 000000005808: D1D30316 045B47A2
	v_max3_f32 v23, |v164|, |v165|, v23                        // 000000005810: D1D30317 045F4BA4
	v_max3_f32 v23, |v166|, |v167|, v23                        // 000000005818: D1D30317 045F4FA6
	v_max3_f32 v22, |v168|, |v169|, v22                        // 000000005820: D1D30316 045B53A8
	v_max3_f32 v22, |v170|, |v171|, v22                        // 000000005828: D1D30316 045B57AA
	v_max3_f32 v23, |v172|, |v173|, v23                        // 000000005830: D1D30317 045F5BAC
	v_max3_f32 v23, |v174|, |v175|, v23                        // 000000005838: D1D30317 045F5FAE
	v_max3_f32 v22, |v176|, |v177|, v22                        // 000000005840: D1D30316 045B63B0
	v_max3_f32 v22, |v178|, |v179|, v22                        // 000000005848: D1D30316 045B67B2
	v_max3_f32 v23, |v180|, |v181|, v23                        // 000000005850: D1D30317 045F6BB4
	v_max3_f32 v23, |v182|, |v183|, v23                        // 000000005858: D1D30317 045F6FB6
	v_max3_f32 v22, |v184|, |v185|, v22                        // 000000005860: D1D30316 045B73B8
	v_max3_f32 v22, |v186|, |v187|, v22                        // 000000005868: D1D30316 045B77BA
	v_max3_f32 v23, |v188|, |v189|, v23                        // 000000005870: D1D30317 045F7BBC
	v_max3_f32 v23, |v190|, |v191|, v23                        // 000000005878: D1D30317 045F7FBE
	v_lshlrev_b32_e32 v50, 3, v0                               // 000000005880: 24640083
	s_mul_i32 s60, 0x200, s7                                   // 000000005884: 923C07FF 00000200
	v_add_u32_e32 v50, s60, v50                                // 00000000588C: 6864643C
	ds_write_b64 v50, v[22:23] offset:16640                    // 000000005890: D89A4100 00001632
	s_waitcnt lgkmcnt(0)                                       // 000000005898: BF8CC07F
	s_barrier                                                  // 00000000589C: BF8A0000
	v_and_b32_e32 v50, 15, v0                                  // 0000000058A0: 2664008F
	v_lshlrev_b32_e32 v50, 3, v50                              // 0000000058A4: 24646483
	ds_read_b64 v[96:97], v50 offset:16640                     // 0000000058A8: D8EC4100 60000032
	ds_read_b64 v[98:99], v50 offset:16768                     // 0000000058B0: D8EC4180 62000032
	ds_read_b64 v[100:101], v50 offset:16896                   // 0000000058B8: D8EC4200 64000032
	ds_read_b64 v[102:103], v50 offset:17024                   // 0000000058C0: D8EC4280 66000032
	ds_read_b64 v[104:105], v50 offset:17152                   // 0000000058C8: D8EC4300 68000032
	ds_read_b64 v[106:107], v50 offset:17280                   // 0000000058D0: D8EC4380 6A000032
	ds_read_b64 v[108:109], v50 offset:17408                   // 0000000058D8: D8EC4400 6C000032
	ds_read_b64 v[110:111], v50 offset:17536                   // 0000000058E0: D8EC4480 6E000032
	ds_read_b64 v[112:113], v50 offset:17664                   // 0000000058E8: D8EC4500 70000032
	ds_read_b64 v[114:115], v50 offset:17792                   // 0000000058F0: D8EC4580 72000032
	ds_read_b64 v[116:117], v50 offset:17920                   // 0000000058F8: D8EC4600 74000032
	ds_read_b64 v[118:119], v50 offset:18048                   // 000000005900: D8EC4680 76000032
	ds_read_b64 v[120:121], v50 offset:18176                   // 000000005908: D8EC4700 78000032
	ds_read_b64 v[122:123], v50 offset:18304                   // 000000005910: D8EC4780 7A000032
	ds_read_b64 v[124:125], v50 offset:18432                   // 000000005918: D8EC4800 7C000032
	ds_read_b64 v[126:127], v50 offset:18560                   // 000000005920: D8EC4880 7E000032
	s_waitcnt lgkmcnt(0)                                       // 000000005928: BF8CC07F
	v_max3_f32 v22, |v96|, |v98|, v22                          // 00000000592C: D1D30316 045AC560
	v_max3_f32 v23, |v97|, |v99|, v23                          // 000000005934: D1D30317 045EC761
	v_max3_f32 v22, |v100|, |v102|, v22                        // 00000000593C: D1D30316 045ACD64
	v_max3_f32 v23, |v101|, |v103|, v23                        // 000000005944: D1D30317 045ECF65
	v_max3_f32 v22, |v104|, |v106|, v22                        // 00000000594C: D1D30316 045AD568
	v_max3_f32 v23, |v105|, |v107|, v23                        // 000000005954: D1D30317 045ED769
	v_max3_f32 v22, |v108|, |v110|, v22                        // 00000000595C: D1D30316 045ADD6C
	v_max3_f32 v23, |v109|, |v111|, v23                        // 000000005964: D1D30317 045EDF6D
	v_max3_f32 v22, |v112|, |v114|, v22                        // 00000000596C: D1D30316 045AE570
	v_max3_f32 v23, |v113|, |v115|, v23                        // 000000005974: D1D30317 045EE771
	v_max3_f32 v22, |v116|, |v118|, v22                        // 00000000597C: D1D30316 045AED74
	v_max3_f32 v23, |v117|, |v119|, v23                        // 000000005984: D1D30317 045EEF75
	v_max3_f32 v22, |v120|, |v122|, v22                        // 00000000598C: D1D30316 045AF578
	v_max3_f32 v23, |v121|, |v123|, v23                        // 000000005994: D1D30317 045EF779
	v_max3_f32 v22, |v124|, |v126|, v22                        // 00000000599C: D1D30316 045AFD7C
	v_max3_f32 v23, |v125|, |v127|, v23                        // 0000000059A4: D1D30317 045EFF7D
	v_rcp_f32_e32 v22, v22                                     // 0000000059AC: 7E2C4516
	v_rcp_f32_e32 v23, v23                                     // 0000000059B0: 7E2E4517
	v_mul_f32_e32 v22, 0x42fe0000, v22                         // 0000000059B4: 0A2C2CFF 42FE0000
	v_mul_f32_e32 v23, 0x42fe0000, v23                         // 0000000059BC: 0A2E2EFF 42FE0000
	v_mul_f32_e32 v128, v22, v128                              // 0000000059C4: 0B010116
	v_mul_f32_e32 v129, v22, v129                              // 0000000059C8: 0B030316
	v_mul_f32_e32 v130, v22, v130                              // 0000000059CC: 0B050516
	v_mul_f32_e32 v131, v22, v131                              // 0000000059D0: 0B070716
	v_cvt_i32_f32_e32 v128, v128                               // 0000000059D4: 7F001180
	v_cvt_i32_f32_e32 v129, v129                               // 0000000059D8: 7F021181
	v_cvt_i32_f32_e32 v130, v130                               // 0000000059DC: 7F041182
	v_cvt_i32_f32_e32 v131, v131                               // 0000000059E0: 7F061183
	v_perm_b32 v128, v129, v128, s53                           // 0000000059E4: D1ED0080 00D70181
	v_perm_b32 v128, v130, v128, s54                           // 0000000059EC: D1ED0080 00DB0182
	v_perm_b32 v128, v131, v128, s55                           // 0000000059F4: D1ED0080 00DF0183
	v_mul_f32_e32 v132, v23, v132                              // 0000000059FC: 0B090917
	v_mul_f32_e32 v133, v23, v133                              // 000000005A00: 0B0B0B17
	v_mul_f32_e32 v134, v23, v134                              // 000000005A04: 0B0D0D17
	v_mul_f32_e32 v135, v23, v135                              // 000000005A08: 0B0F0F17
	v_cvt_i32_f32_e32 v132, v132                               // 000000005A0C: 7F081184
	v_cvt_i32_f32_e32 v133, v133                               // 000000005A10: 7F0A1185
	v_cvt_i32_f32_e32 v134, v134                               // 000000005A14: 7F0C1186
	v_cvt_i32_f32_e32 v135, v135                               // 000000005A18: 7F0E1187
	v_perm_b32 v129, v133, v132, s53                           // 000000005A1C: D1ED0081 00D70985
	v_perm_b32 v129, v134, v129, s54                           // 000000005A24: D1ED0081 00DB0386
	v_perm_b32 v129, v135, v129, s55                           // 000000005A2C: D1ED0081 00DF0387
	v_mul_f32_e32 v136, v22, v136                              // 000000005A34: 0B111116
	v_mul_f32_e32 v137, v22, v137                              // 000000005A38: 0B131316
	v_mul_f32_e32 v138, v22, v138                              // 000000005A3C: 0B151516
	v_mul_f32_e32 v139, v22, v139                              // 000000005A40: 0B171716
	v_cvt_i32_f32_e32 v136, v136                               // 000000005A44: 7F101188
	v_cvt_i32_f32_e32 v137, v137                               // 000000005A48: 7F121189
	v_cvt_i32_f32_e32 v138, v138                               // 000000005A4C: 7F14118A
	v_cvt_i32_f32_e32 v139, v139                               // 000000005A50: 7F16118B
	v_perm_b32 v130, v137, v136, s53                           // 000000005A54: D1ED0082 00D71189
	v_perm_b32 v130, v138, v130, s54                           // 000000005A5C: D1ED0082 00DB058A
	v_perm_b32 v130, v139, v130, s55                           // 000000005A64: D1ED0082 00DF058B
	v_mul_f32_e32 v140, v23, v140                              // 000000005A6C: 0B191917
	v_mul_f32_e32 v141, v23, v141                              // 000000005A70: 0B1B1B17
	v_mul_f32_e32 v142, v23, v142                              // 000000005A74: 0B1D1D17
	v_mul_f32_e32 v143, v23, v143                              // 000000005A78: 0B1F1F17
	v_cvt_i32_f32_e32 v140, v140                               // 000000005A7C: 7F18118C
	v_cvt_i32_f32_e32 v141, v141                               // 000000005A80: 7F1A118D
	v_cvt_i32_f32_e32 v142, v142                               // 000000005A84: 7F1C118E
	v_cvt_i32_f32_e32 v143, v143                               // 000000005A88: 7F1E118F
	v_perm_b32 v131, v141, v140, s53                           // 000000005A8C: D1ED0083 00D7198D
	v_perm_b32 v131, v142, v131, s54                           // 000000005A94: D1ED0083 00DB078E
	v_perm_b32 v131, v143, v131, s55                           // 000000005A9C: D1ED0083 00DF078F
	v_mul_f32_e32 v144, v22, v144                              // 000000005AA4: 0B212116
	v_mul_f32_e32 v145, v22, v145                              // 000000005AA8: 0B232316
	v_mul_f32_e32 v146, v22, v146                              // 000000005AAC: 0B252516
	v_mul_f32_e32 v147, v22, v147                              // 000000005AB0: 0B272716
	v_cvt_i32_f32_e32 v144, v144                               // 000000005AB4: 7F201190
	v_cvt_i32_f32_e32 v145, v145                               // 000000005AB8: 7F221191
	v_cvt_i32_f32_e32 v146, v146                               // 000000005ABC: 7F241192
	v_cvt_i32_f32_e32 v147, v147                               // 000000005AC0: 7F261193
	v_perm_b32 v132, v145, v144, s53                           // 000000005AC4: D1ED0084 00D72191
	v_perm_b32 v132, v146, v132, s54                           // 000000005ACC: D1ED0084 00DB0992
	v_perm_b32 v132, v147, v132, s55                           // 000000005AD4: D1ED0084 00DF0993
	v_mul_f32_e32 v148, v23, v148                              // 000000005ADC: 0B292917
	v_mul_f32_e32 v149, v23, v149                              // 000000005AE0: 0B2B2B17
	v_mul_f32_e32 v150, v23, v150                              // 000000005AE4: 0B2D2D17
	v_mul_f32_e32 v151, v23, v151                              // 000000005AE8: 0B2F2F17
	v_cvt_i32_f32_e32 v148, v148                               // 000000005AEC: 7F281194
	v_cvt_i32_f32_e32 v149, v149                               // 000000005AF0: 7F2A1195
	v_cvt_i32_f32_e32 v150, v150                               // 000000005AF4: 7F2C1196
	v_cvt_i32_f32_e32 v151, v151                               // 000000005AF8: 7F2E1197
	v_perm_b32 v133, v149, v148, s53                           // 000000005AFC: D1ED0085 00D72995
	v_perm_b32 v133, v150, v133, s54                           // 000000005B04: D1ED0085 00DB0B96
	v_perm_b32 v133, v151, v133, s55                           // 000000005B0C: D1ED0085 00DF0B97
	v_mul_f32_e32 v152, v22, v152                              // 000000005B14: 0B313116
	v_mul_f32_e32 v153, v22, v153                              // 000000005B18: 0B333316
	v_mul_f32_e32 v154, v22, v154                              // 000000005B1C: 0B353516
	v_mul_f32_e32 v155, v22, v155                              // 000000005B20: 0B373716
	v_cvt_i32_f32_e32 v152, v152                               // 000000005B24: 7F301198
	v_cvt_i32_f32_e32 v153, v153                               // 000000005B28: 7F321199
	v_cvt_i32_f32_e32 v154, v154                               // 000000005B2C: 7F34119A
	v_cvt_i32_f32_e32 v155, v155                               // 000000005B30: 7F36119B
	v_perm_b32 v134, v153, v152, s53                           // 000000005B34: D1ED0086 00D73199
	v_perm_b32 v134, v154, v134, s54                           // 000000005B3C: D1ED0086 00DB0D9A
	v_perm_b32 v134, v155, v134, s55                           // 000000005B44: D1ED0086 00DF0D9B
	v_mul_f32_e32 v156, v23, v156                              // 000000005B4C: 0B393917
	v_mul_f32_e32 v157, v23, v157                              // 000000005B50: 0B3B3B17
	v_mul_f32_e32 v158, v23, v158                              // 000000005B54: 0B3D3D17
	v_mul_f32_e32 v159, v23, v159                              // 000000005B58: 0B3F3F17
	v_cvt_i32_f32_e32 v156, v156                               // 000000005B5C: 7F38119C
	v_cvt_i32_f32_e32 v157, v157                               // 000000005B60: 7F3A119D
	v_cvt_i32_f32_e32 v158, v158                               // 000000005B64: 7F3C119E
	v_cvt_i32_f32_e32 v159, v159                               // 000000005B68: 7F3E119F
	v_perm_b32 v135, v157, v156, s53                           // 000000005B6C: D1ED0087 00D7399D
	v_perm_b32 v135, v158, v135, s54                           // 000000005B74: D1ED0087 00DB0F9E
	v_perm_b32 v135, v159, v135, s55                           // 000000005B7C: D1ED0087 00DF0F9F
	v_mul_f32_e32 v160, v22, v160                              // 000000005B84: 0B414116
	v_mul_f32_e32 v161, v22, v161                              // 000000005B88: 0B434316
	v_mul_f32_e32 v162, v22, v162                              // 000000005B8C: 0B454516
	v_mul_f32_e32 v163, v22, v163                              // 000000005B90: 0B474716
	v_cvt_i32_f32_e32 v160, v160                               // 000000005B94: 7F4011A0
	v_cvt_i32_f32_e32 v161, v161                               // 000000005B98: 7F4211A1
	v_cvt_i32_f32_e32 v162, v162                               // 000000005B9C: 7F4411A2
	v_cvt_i32_f32_e32 v163, v163                               // 000000005BA0: 7F4611A3
	v_perm_b32 v136, v161, v160, s53                           // 000000005BA4: D1ED0088 00D741A1
	v_perm_b32 v136, v162, v136, s54                           // 000000005BAC: D1ED0088 00DB11A2
	v_perm_b32 v136, v163, v136, s55                           // 000000005BB4: D1ED0088 00DF11A3
	v_mul_f32_e32 v164, v23, v164                              // 000000005BBC: 0B494917
	v_mul_f32_e32 v165, v23, v165                              // 000000005BC0: 0B4B4B17
	v_mul_f32_e32 v166, v23, v166                              // 000000005BC4: 0B4D4D17
	v_mul_f32_e32 v167, v23, v167                              // 000000005BC8: 0B4F4F17
	v_cvt_i32_f32_e32 v164, v164                               // 000000005BCC: 7F4811A4
	v_cvt_i32_f32_e32 v165, v165                               // 000000005BD0: 7F4A11A5
	v_cvt_i32_f32_e32 v166, v166                               // 000000005BD4: 7F4C11A6
	v_cvt_i32_f32_e32 v167, v167                               // 000000005BD8: 7F4E11A7
	v_perm_b32 v137, v165, v164, s53                           // 000000005BDC: D1ED0089 00D749A5
	v_perm_b32 v137, v166, v137, s54                           // 000000005BE4: D1ED0089 00DB13A6
	v_perm_b32 v137, v167, v137, s55                           // 000000005BEC: D1ED0089 00DF13A7
	v_mul_f32_e32 v168, v22, v168                              // 000000005BF4: 0B515116
	v_mul_f32_e32 v169, v22, v169                              // 000000005BF8: 0B535316
	v_mul_f32_e32 v170, v22, v170                              // 000000005BFC: 0B555516
	v_mul_f32_e32 v171, v22, v171                              // 000000005C00: 0B575716
	v_cvt_i32_f32_e32 v168, v168                               // 000000005C04: 7F5011A8
	v_cvt_i32_f32_e32 v169, v169                               // 000000005C08: 7F5211A9
	v_cvt_i32_f32_e32 v170, v170                               // 000000005C0C: 7F5411AA
	v_cvt_i32_f32_e32 v171, v171                               // 000000005C10: 7F5611AB
	v_perm_b32 v138, v169, v168, s53                           // 000000005C14: D1ED008A 00D751A9
	v_perm_b32 v138, v170, v138, s54                           // 000000005C1C: D1ED008A 00DB15AA
	v_perm_b32 v138, v171, v138, s55                           // 000000005C24: D1ED008A 00DF15AB
	v_mul_f32_e32 v172, v23, v172                              // 000000005C2C: 0B595917
	v_mul_f32_e32 v173, v23, v173                              // 000000005C30: 0B5B5B17
	v_mul_f32_e32 v174, v23, v174                              // 000000005C34: 0B5D5D17
	v_mul_f32_e32 v175, v23, v175                              // 000000005C38: 0B5F5F17
	v_cvt_i32_f32_e32 v172, v172                               // 000000005C3C: 7F5811AC
	v_cvt_i32_f32_e32 v173, v173                               // 000000005C40: 7F5A11AD
	v_cvt_i32_f32_e32 v174, v174                               // 000000005C44: 7F5C11AE
	v_cvt_i32_f32_e32 v175, v175                               // 000000005C48: 7F5E11AF
	v_perm_b32 v139, v173, v172, s53                           // 000000005C4C: D1ED008B 00D759AD
	v_perm_b32 v139, v174, v139, s54                           // 000000005C54: D1ED008B 00DB17AE
	v_perm_b32 v139, v175, v139, s55                           // 000000005C5C: D1ED008B 00DF17AF
	v_mul_f32_e32 v176, v22, v176                              // 000000005C64: 0B616116
	v_mul_f32_e32 v177, v22, v177                              // 000000005C68: 0B636316
	v_mul_f32_e32 v178, v22, v178                              // 000000005C6C: 0B656516
	v_mul_f32_e32 v179, v22, v179                              // 000000005C70: 0B676716
	v_cvt_i32_f32_e32 v176, v176                               // 000000005C74: 7F6011B0
	v_cvt_i32_f32_e32 v177, v177                               // 000000005C78: 7F6211B1
	v_cvt_i32_f32_e32 v178, v178                               // 000000005C7C: 7F6411B2
	v_cvt_i32_f32_e32 v179, v179                               // 000000005C80: 7F6611B3
	v_perm_b32 v140, v177, v176, s53                           // 000000005C84: D1ED008C 00D761B1
	v_perm_b32 v140, v178, v140, s54                           // 000000005C8C: D1ED008C 00DB19B2
	v_perm_b32 v140, v179, v140, s55                           // 000000005C94: D1ED008C 00DF19B3
	v_mul_f32_e32 v180, v23, v180                              // 000000005C9C: 0B696917
	v_mul_f32_e32 v181, v23, v181                              // 000000005CA0: 0B6B6B17
	v_mul_f32_e32 v182, v23, v182                              // 000000005CA4: 0B6D6D17
	v_mul_f32_e32 v183, v23, v183                              // 000000005CA8: 0B6F6F17
	v_cvt_i32_f32_e32 v180, v180                               // 000000005CAC: 7F6811B4
	v_cvt_i32_f32_e32 v181, v181                               // 000000005CB0: 7F6A11B5
	v_cvt_i32_f32_e32 v182, v182                               // 000000005CB4: 7F6C11B6
	v_cvt_i32_f32_e32 v183, v183                               // 000000005CB8: 7F6E11B7
	v_perm_b32 v141, v181, v180, s53                           // 000000005CBC: D1ED008D 00D769B5
	v_perm_b32 v141, v182, v141, s54                           // 000000005CC4: D1ED008D 00DB1BB6
	v_perm_b32 v141, v183, v141, s55                           // 000000005CCC: D1ED008D 00DF1BB7
	v_mul_f32_e32 v184, v22, v184                              // 000000005CD4: 0B717116
	v_mul_f32_e32 v185, v22, v185                              // 000000005CD8: 0B737316
	v_mul_f32_e32 v186, v22, v186                              // 000000005CDC: 0B757516
	v_mul_f32_e32 v187, v22, v187                              // 000000005CE0: 0B777716
	v_cvt_i32_f32_e32 v184, v184                               // 000000005CE4: 7F7011B8
	v_cvt_i32_f32_e32 v185, v185                               // 000000005CE8: 7F7211B9
	v_cvt_i32_f32_e32 v186, v186                               // 000000005CEC: 7F7411BA
	v_cvt_i32_f32_e32 v187, v187                               // 000000005CF0: 7F7611BB
	v_perm_b32 v142, v185, v184, s53                           // 000000005CF4: D1ED008E 00D771B9
	v_perm_b32 v142, v186, v142, s54                           // 000000005CFC: D1ED008E 00DB1DBA
	v_perm_b32 v142, v187, v142, s55                           // 000000005D04: D1ED008E 00DF1DBB
	v_mul_f32_e32 v188, v23, v188                              // 000000005D0C: 0B797917
	v_mul_f32_e32 v189, v23, v189                              // 000000005D10: 0B7B7B17
	v_mul_f32_e32 v190, v23, v190                              // 000000005D14: 0B7D7D17
	v_mul_f32_e32 v191, v23, v191                              // 000000005D18: 0B7F7F17
	v_cvt_i32_f32_e32 v188, v188                               // 000000005D1C: 7F7811BC
	v_cvt_i32_f32_e32 v189, v189                               // 000000005D20: 7F7A11BD
	v_cvt_i32_f32_e32 v190, v190                               // 000000005D24: 7F7C11BE
	v_cvt_i32_f32_e32 v191, v191                               // 000000005D28: 7F7E11BF
	v_perm_b32 v143, v189, v188, s53                           // 000000005D2C: D1ED008F 00D779BD
	v_perm_b32 v143, v190, v143, s54                           // 000000005D34: D1ED008F 00DB1FBE
	v_perm_b32 v143, v191, v143, s55                           // 000000005D3C: D1ED008F 00DF1FBF
	v_rcp_f32_e32 v24, v22                                     // 000000005D44: 7E304516
	v_rcp_f32_e32 v25, v23                                     // 000000005D48: 7E324517
	v_lshrrev_b32_e32 v50, 5, v0                               // 000000005D4C: 20640085
	v_lshlrev_b32_e32 v51, 5, v50                              // 000000005D50: 24666485
	v_and_b32_e32 v50, 31, v0                                  // 000000005D54: 2664009F
	v_lshrrev_b32_e32 v52, 4, v50                              // 000000005D58: 20686484
	v_add_u32_e32 v51, v52, v51                                // 000000005D5C: 68666734
	v_and_b32_e32 v50, 15, v0                                  // 000000005D60: 2664008F
	v_lshlrev_b32_e32 v50, 1, v50                              // 000000005D64: 24646481
	v_add_u32_e32 v51, v50, v51                                // 000000005D68: 68666732
	v_lshlrev_b32_e32 v50, 2, v51                              // 000000005D6C: 24646682
	s_mul_i32 s60, 0x100, s7                                   // 000000005D70: 923C07FF 00000100
	v_add_u32_e64 v50, v50, s60                                // 000000005D78: D1340032 00007932
	ds_write_b32 v50, v128 offset:18688                        // 000000005D80: D81A4900 00008032
	ds_write_b32 v50, v129 offset:26880                        // 000000005D88: D81A6900 00008132
	ds_write_b32 v50, v130 offset:19712                        // 000000005D90: D81A4D00 00008232
	ds_write_b32 v50, v131 offset:27904                        // 000000005D98: D81A6D00 00008332
	ds_write_b32 v50, v132 offset:20736                        // 000000005DA0: D81A5100 00008432
	ds_write_b32 v50, v133 offset:28928                        // 000000005DA8: D81A7100 00008532
	ds_write_b32 v50, v134 offset:21760                        // 000000005DB0: D81A5500 00008632
	ds_write_b32 v50, v135 offset:29952                        // 000000005DB8: D81A7500 00008732
	ds_write_b32 v50, v136 offset:22784                        // 000000005DC0: D81A5900 00008832
	ds_write_b32 v50, v137 offset:30976                        // 000000005DC8: D81A7900 00008932
	ds_write_b32 v50, v138 offset:23808                        // 000000005DD0: D81A5D00 00008A32
	ds_write_b32 v50, v139 offset:32000                        // 000000005DD8: D81A7D00 00008B32
	ds_write_b32 v50, v140 offset:24832                        // 000000005DE0: D81A6100 00008C32
	ds_write_b32 v50, v141 offset:33024                        // 000000005DE8: D81A8100 00008D32
	ds_write_b32 v50, v142 offset:25856                        // 000000005DF0: D81A6500 00008E32
	ds_write_b32 v50, v143 offset:34048                        // 000000005DF8: D81A8500 00008F32
	s_waitcnt lgkmcnt(0)                                       // 000000005E00: BF8CC07F
	s_barrier                                                  // 000000005E04: BF8A0000
	v_lshrrev_b32_e32 v50, 4, v0                               // 000000005E08: 20640084
	v_lshlrev_b32_e32 v51, 6, v50                              // 000000005E0C: 24666486
	v_and_b32_e32 v50, 15, v0                                  // 000000005E10: 2664008F
	v_lshlrev_b32_e32 v50, 1, v50                              // 000000005E14: 24646481
	v_add_u32_e32 v51, v50, v51                                // 000000005E18: 68666732
	v_lshlrev_b32_e32 v50, 2, v51                              // 000000005E1C: 24646682
	ds_read_b64 v[128:129], v50 offset:18688                   // 000000005E20: D8EC4900 80000032
	ds_read_b64 v[130:131], v50 offset:18816                   // 000000005E28: D8EC4980 82000032
	ds_read_b64 v[132:133], v50 offset:19712                   // 000000005E30: D8EC4D00 84000032
	ds_read_b64 v[134:135], v50 offset:19840                   // 000000005E38: D8EC4D80 86000032
	ds_read_b64 v[136:137], v50 offset:20736                   // 000000005E40: D8EC5100 88000032
	ds_read_b64 v[138:139], v50 offset:20864                   // 000000005E48: D8EC5180 8A000032
	ds_read_b64 v[140:141], v50 offset:21760                   // 000000005E50: D8EC5500 8C000032
	ds_read_b64 v[142:143], v50 offset:21888                   // 000000005E58: D8EC5580 8E000032
	ds_read_b64 v[144:145], v50 offset:22784                   // 000000005E60: D8EC5900 90000032
	ds_read_b64 v[146:147], v50 offset:22912                   // 000000005E68: D8EC5980 92000032
	ds_read_b64 v[148:149], v50 offset:23808                   // 000000005E70: D8EC5D00 94000032
	ds_read_b64 v[150:151], v50 offset:23936                   // 000000005E78: D8EC5D80 96000032
	ds_read_b64 v[152:153], v50 offset:24832                   // 000000005E80: D8EC6100 98000032
	ds_read_b64 v[154:155], v50 offset:24960                   // 000000005E88: D8EC6180 9A000032
	ds_read_b64 v[156:157], v50 offset:25856                   // 000000005E90: D8EC6500 9C000032
	ds_read_b64 v[158:159], v50 offset:25984                   // 000000005E98: D8EC6580 9E000032
	ds_read_b64 v[160:161], v50 offset:26880                   // 000000005EA0: D8EC6900 A0000032
	ds_read_b64 v[162:163], v50 offset:27008                   // 000000005EA8: D8EC6980 A2000032
	ds_read_b64 v[164:165], v50 offset:27904                   // 000000005EB0: D8EC6D00 A4000032
	ds_read_b64 v[166:167], v50 offset:28032                   // 000000005EB8: D8EC6D80 A6000032
	ds_read_b64 v[168:169], v50 offset:28928                   // 000000005EC0: D8EC7100 A8000032
	ds_read_b64 v[170:171], v50 offset:29056                   // 000000005EC8: D8EC7180 AA000032
	ds_read_b64 v[172:173], v50 offset:29952                   // 000000005ED0: D8EC7500 AC000032
	ds_read_b64 v[174:175], v50 offset:30080                   // 000000005ED8: D8EC7580 AE000032
	ds_read_b64 v[176:177], v50 offset:30976                   // 000000005EE0: D8EC7900 B0000032
	ds_read_b64 v[178:179], v50 offset:31104                   // 000000005EE8: D8EC7980 B2000032
	ds_read_b64 v[180:181], v50 offset:32000                   // 000000005EF0: D8EC7D00 B4000032
	ds_read_b64 v[182:183], v50 offset:32128                   // 000000005EF8: D8EC7D80 B6000032
	ds_read_b64 v[184:185], v50 offset:33024                   // 000000005F00: D8EC8100 B8000032
	ds_read_b64 v[186:187], v50 offset:33152                   // 000000005F08: D8EC8180 BA000032
	ds_read_b64 v[188:189], v50 offset:34048                   // 000000005F10: D8EC8500 BC000032
	ds_read_b64 v[190:191], v50 offset:34176                   // 000000005F18: D8EC8580 BE000032
	s_add_u32 s12, s56, s12                                    // 000000005F20: 800C0C38
	s_addc_u32 s13, 0, s13                                     // 000000005F24: 820D0D80
	s_add_u32 s16, s79, s16                                    // 000000005F28: 8010104F
	s_addc_u32 s17, 0, s17                                     // 000000005F2C: 82111180
	s_mov_b32 s80, 0                                           // 000000005F30: BED00080
	s_waitcnt vmcnt(0) expcnt(0) lgkmcnt(0)                    // 000000005F34: BF8C0000

0000000000005f38 <label_0C4E>:
	s_waitcnt vmcnt(45)                                        // 000000005F38: BF8C8F7D
	s_barrier                                                  // 000000005F3C: BF8A0000
	v_mfma_i32_16x16x32_i8 v[192:195], a[0:1], v[128:129], 0   // 000000005F40: D3D700C0 0A030100
	v_mfma_i32_16x16x32_i8 v[192:195], a[2:3], v[130:131], v[192:195]// 000000005F48: D3D700C0 0F030502
	buffer_load_dwordx4 a[128:131], v42, s[12:15], 0 offen     // 000000005F50: E05C1000 8083802A
	v_mfma_i32_16x16x32_i8 v[196:199], a[0:1], v[160:161], 0   // 000000005F58: D3D700C4 0A034100
	v_mfma_i32_16x16x32_i8 v[196:199], a[2:3], v[162:163], v[196:199]// 000000005F60: D3D700C4 0F134502
	v_mfma_i32_16x16x32_i8 v[200:203], a[4:5], v[128:129], 0   // 000000005F68: D3D700C8 0A030104
	v_mfma_i32_16x16x32_i8 v[200:203], a[6:7], v[130:131], v[200:203]// 000000005F70: D3D700C8 0F230506
	buffer_load_dwordx4 a[132:135], v43, s[12:15], 0 offen     // 000000005F78: E05C1000 8083842B
	v_mfma_i32_16x16x32_i8 v[204:207], a[4:5], v[160:161], 0   // 000000005F80: D3D700CC 0A034104
	v_mfma_i32_16x16x32_i8 v[204:207], a[6:7], v[162:163], v[204:207]// 000000005F88: D3D700CC 0F334506
	v_mfma_i32_16x16x32_i8 v[208:211], a[8:9], v[128:129], 0   // 000000005F90: D3D700D0 0A030108
	v_mfma_i32_16x16x32_i8 v[208:211], a[10:11], v[130:131], v[208:211]// 000000005F98: D3D700D0 0F43050A
	buffer_load_dwordx4 a[136:139], v44, s[12:15], 0 offen     // 000000005FA0: E05C1000 8083882C
	v_mfma_i32_16x16x32_i8 v[212:215], a[8:9], v[160:161], 0   // 000000005FA8: D3D700D4 0A034108
	v_mfma_i32_16x16x32_i8 v[212:215], a[10:11], v[162:163], v[212:215]// 000000005FB0: D3D700D4 0F53450A
	v_mfma_i32_16x16x32_i8 v[216:219], a[12:13], v[128:129], 0 // 000000005FB8: D3D700D8 0A03010C
	v_mfma_i32_16x16x32_i8 v[216:219], a[14:15], v[130:131], v[216:219]// 000000005FC0: D3D700D8 0F63050E
	buffer_load_dwordx4 a[140:143], v45, s[12:15], 0 offen     // 000000005FC8: E05C1000 80838C2D
	s_add_u32 s12, s78, s12                                    // 000000005FD0: 800C0C4E
	s_addc_u32 s13, 0, s13                                     // 000000005FD4: 820D0D80
	v_mfma_i32_16x16x32_i8 v[220:223], a[12:13], v[160:161], 0 // 000000005FD8: D3D700DC 0A03410C
	v_mfma_i32_16x16x32_i8 v[220:223], a[14:15], v[162:163], v[220:223]// 000000005FE0: D3D700DC 0F73450E
	s_waitcnt vmcnt(45)                                        // 000000005FE8: BF8C8F7D
	v_mfma_i32_16x16x32_i8 v[192:195], a[16:17], v[132:133], v[192:195]// 000000005FEC: D3D700C0 0F030910
	v_mfma_i32_16x16x32_i8 v[192:195], a[18:19], v[134:135], v[192:195]// 000000005FF4: D3D700C0 0F030D12
	buffer_load_dwordx4 a[144:147], v42, s[12:15], 0 offen     // 000000005FFC: E05C1000 8083902A
	v_mfma_i32_16x16x32_i8 v[196:199], a[16:17], v[164:165], v[196:199]// 000000006004: D3D700C4 0F134910
	v_mfma_i32_16x16x32_i8 v[196:199], a[18:19], v[166:167], v[196:199]// 00000000600C: D3D700C4 0F134D12
	v_mfma_i32_16x16x32_i8 v[200:203], a[20:21], v[132:133], v[200:203]// 000000006014: D3D700C8 0F230914
	v_mfma_i32_16x16x32_i8 v[200:203], a[22:23], v[134:135], v[200:203]// 00000000601C: D3D700C8 0F230D16
	buffer_load_dwordx4 a[148:151], v43, s[12:15], 0 offen     // 000000006024: E05C1000 8083942B
	v_mfma_i32_16x16x32_i8 v[204:207], a[20:21], v[164:165], v[204:207]// 00000000602C: D3D700CC 0F334914
	v_mfma_i32_16x16x32_i8 v[204:207], a[22:23], v[166:167], v[204:207]// 000000006034: D3D700CC 0F334D16
	v_mfma_i32_16x16x32_i8 v[208:211], a[24:25], v[132:133], v[208:211]// 00000000603C: D3D700D0 0F430918
	v_mfma_i32_16x16x32_i8 v[208:211], a[26:27], v[134:135], v[208:211]// 000000006044: D3D700D0 0F430D1A
	buffer_load_dwordx4 a[152:155], v44, s[12:15], 0 offen     // 00000000604C: E05C1000 8083982C
	v_mfma_i32_16x16x32_i8 v[212:215], a[24:25], v[164:165], v[212:215]// 000000006054: D3D700D4 0F534918
	v_mfma_i32_16x16x32_i8 v[212:215], a[26:27], v[166:167], v[212:215]// 00000000605C: D3D700D4 0F534D1A
	v_mfma_i32_16x16x32_i8 v[216:219], a[28:29], v[132:133], v[216:219]// 000000006064: D3D700D8 0F63091C
	v_mfma_i32_16x16x32_i8 v[216:219], a[30:31], v[134:135], v[216:219]// 00000000606C: D3D700D8 0F630D1E
	buffer_load_dwordx4 a[156:159], v45, s[12:15], 0 offen     // 000000006074: E05C1000 80839C2D
	s_add_u32 s12, s78, s12                                    // 00000000607C: 800C0C4E
	s_addc_u32 s13, 0, s13                                     // 000000006080: 820D0D80
	v_mfma_i32_16x16x32_i8 v[220:223], a[28:29], v[164:165], v[220:223]// 000000006084: D3D700DC 0F73491C
	v_mfma_i32_16x16x32_i8 v[220:223], a[30:31], v[166:167], v[220:223]// 00000000608C: D3D700DC 0F734D1E
	s_waitcnt vmcnt(45)                                        // 000000006094: BF8C8F7D
	v_mfma_i32_16x16x32_i8 v[192:195], a[32:33], v[136:137], v[192:195]// 000000006098: D3D700C0 0F031120
	v_mfma_i32_16x16x32_i8 v[192:195], a[34:35], v[138:139], v[192:195]// 0000000060A0: D3D700C0 0F031522
	buffer_load_dwordx4 a[160:163], v42, s[12:15], 0 offen     // 0000000060A8: E05C1000 8083A02A
	v_mfma_i32_16x16x32_i8 v[196:199], a[32:33], v[168:169], v[196:199]// 0000000060B0: D3D700C4 0F135120
	v_mfma_i32_16x16x32_i8 v[196:199], a[34:35], v[170:171], v[196:199]// 0000000060B8: D3D700C4 0F135522
	v_mfma_i32_16x16x32_i8 v[200:203], a[36:37], v[136:137], v[200:203]// 0000000060C0: D3D700C8 0F231124
	v_mfma_i32_16x16x32_i8 v[200:203], a[38:39], v[138:139], v[200:203]// 0000000060C8: D3D700C8 0F231526
	buffer_load_dwordx4 a[164:167], v43, s[12:15], 0 offen     // 0000000060D0: E05C1000 8083A42B
	v_mfma_i32_16x16x32_i8 v[204:207], a[36:37], v[168:169], v[204:207]// 0000000060D8: D3D700CC 0F335124
	v_mfma_i32_16x16x32_i8 v[204:207], a[38:39], v[170:171], v[204:207]// 0000000060E0: D3D700CC 0F335526
	v_mfma_i32_16x16x32_i8 v[208:211], a[40:41], v[136:137], v[208:211]// 0000000060E8: D3D700D0 0F431128
	v_mfma_i32_16x16x32_i8 v[208:211], a[42:43], v[138:139], v[208:211]// 0000000060F0: D3D700D0 0F43152A
	buffer_load_dwordx4 a[168:171], v44, s[12:15], 0 offen     // 0000000060F8: E05C1000 8083A82C
	v_mfma_i32_16x16x32_i8 v[212:215], a[40:41], v[168:169], v[212:215]// 000000006100: D3D700D4 0F535128
	v_mfma_i32_16x16x32_i8 v[212:215], a[42:43], v[170:171], v[212:215]// 000000006108: D3D700D4 0F53552A
	v_mfma_i32_16x16x32_i8 v[216:219], a[44:45], v[136:137], v[216:219]// 000000006110: D3D700D8 0F63112C
	v_mfma_i32_16x16x32_i8 v[216:219], a[46:47], v[138:139], v[216:219]// 000000006118: D3D700D8 0F63152E
	buffer_load_dwordx4 a[172:175], v45, s[12:15], 0 offen     // 000000006120: E05C1000 8083AC2D
	s_add_u32 s12, s78, s12                                    // 000000006128: 800C0C4E
	s_addc_u32 s13, 0, s13                                     // 00000000612C: 820D0D80
	v_mfma_i32_16x16x32_i8 v[220:223], a[44:45], v[168:169], v[220:223]// 000000006130: D3D700DC 0F73512C
	v_mfma_i32_16x16x32_i8 v[220:223], a[46:47], v[170:171], v[220:223]// 000000006138: D3D700DC 0F73552E
	s_waitcnt vmcnt(45)                                        // 000000006140: BF8C8F7D
	v_mfma_i32_16x16x32_i8 v[192:195], a[48:49], v[140:141], v[192:195]// 000000006144: D3D700C0 0F031930
	v_mfma_i32_16x16x32_i8 v[192:195], a[50:51], v[142:143], v[192:195]// 00000000614C: D3D700C0 0F031D32
	buffer_load_dwordx4 a[176:179], v42, s[12:15], 0 offen     // 000000006154: E05C1000 8083B02A
	v_mfma_i32_16x16x32_i8 v[196:199], a[48:49], v[172:173], v[196:199]// 00000000615C: D3D700C4 0F135930
	v_mfma_i32_16x16x32_i8 v[196:199], a[50:51], v[174:175], v[196:199]// 000000006164: D3D700C4 0F135D32
	v_mfma_i32_16x16x32_i8 v[200:203], a[52:53], v[140:141], v[200:203]// 00000000616C: D3D700C8 0F231934
	v_mfma_i32_16x16x32_i8 v[200:203], a[54:55], v[142:143], v[200:203]// 000000006174: D3D700C8 0F231D36
	buffer_load_dwordx4 a[180:183], v43, s[12:15], 0 offen     // 00000000617C: E05C1000 8083B42B
	v_mfma_i32_16x16x32_i8 v[204:207], a[52:53], v[172:173], v[204:207]// 000000006184: D3D700CC 0F335934
	v_mfma_i32_16x16x32_i8 v[204:207], a[54:55], v[174:175], v[204:207]// 00000000618C: D3D700CC 0F335D36
	v_mfma_i32_16x16x32_i8 v[208:211], a[56:57], v[140:141], v[208:211]// 000000006194: D3D700D0 0F431938
	v_mfma_i32_16x16x32_i8 v[208:211], a[58:59], v[142:143], v[208:211]// 00000000619C: D3D700D0 0F431D3A
	buffer_load_dwordx4 a[184:187], v44, s[12:15], 0 offen     // 0000000061A4: E05C1000 8083B82C
	v_mfma_i32_16x16x32_i8 v[212:215], a[56:57], v[172:173], v[212:215]// 0000000061AC: D3D700D4 0F535938
	v_mfma_i32_16x16x32_i8 v[212:215], a[58:59], v[174:175], v[212:215]// 0000000061B4: D3D700D4 0F535D3A
	v_mfma_i32_16x16x32_i8 v[216:219], a[60:61], v[140:141], v[216:219]// 0000000061BC: D3D700D8 0F63193C
	v_mfma_i32_16x16x32_i8 v[216:219], a[62:63], v[142:143], v[216:219]// 0000000061C4: D3D700D8 0F631D3E
	buffer_load_dwordx4 a[188:191], v45, s[12:15], 0 offen     // 0000000061CC: E05C1000 8083BC2D
	s_add_u32 s12, s78, s12                                    // 0000000061D4: 800C0C4E
	s_addc_u32 s13, 0, s13                                     // 0000000061D8: 820D0D80
	v_mfma_i32_16x16x32_i8 v[220:223], a[60:61], v[172:173], v[220:223]// 0000000061DC: D3D700DC 0F73593C
	v_mfma_i32_16x16x32_i8 v[220:223], a[62:63], v[174:175], v[220:223]// 0000000061E4: D3D700DC 0F735D3E
	s_waitcnt vmcnt(45)                                        // 0000000061EC: BF8C8F7D
	v_mfma_i32_16x16x32_i8 v[192:195], a[64:65], v[144:145], v[192:195]// 0000000061F0: D3D700C0 0F032140
	v_mfma_i32_16x16x32_i8 v[192:195], a[66:67], v[146:147], v[192:195]// 0000000061F8: D3D700C0 0F032542
	buffer_load_dwordx4 a[192:195], v42, s[12:15], 0 offen     // 000000006200: E05C1000 8083C02A
	v_mfma_i32_16x16x32_i8 v[196:199], a[64:65], v[176:177], v[196:199]// 000000006208: D3D700C4 0F136140
	v_mfma_i32_16x16x32_i8 v[196:199], a[66:67], v[178:179], v[196:199]// 000000006210: D3D700C4 0F136542
	v_mfma_i32_16x16x32_i8 v[200:203], a[68:69], v[144:145], v[200:203]// 000000006218: D3D700C8 0F232144
	v_mfma_i32_16x16x32_i8 v[200:203], a[70:71], v[146:147], v[200:203]// 000000006220: D3D700C8 0F232546
	buffer_load_dwordx4 a[196:199], v43, s[12:15], 0 offen     // 000000006228: E05C1000 8083C42B
	v_mfma_i32_16x16x32_i8 v[204:207], a[68:69], v[176:177], v[204:207]// 000000006230: D3D700CC 0F336144
	v_mfma_i32_16x16x32_i8 v[204:207], a[70:71], v[178:179], v[204:207]// 000000006238: D3D700CC 0F336546
	v_mfma_i32_16x16x32_i8 v[208:211], a[72:73], v[144:145], v[208:211]// 000000006240: D3D700D0 0F432148
	v_mfma_i32_16x16x32_i8 v[208:211], a[74:75], v[146:147], v[208:211]// 000000006248: D3D700D0 0F43254A
	buffer_load_dwordx4 a[200:203], v44, s[12:15], 0 offen     // 000000006250: E05C1000 8083C82C
	v_mfma_i32_16x16x32_i8 v[212:215], a[72:73], v[176:177], v[212:215]// 000000006258: D3D700D4 0F536148
	v_mfma_i32_16x16x32_i8 v[212:215], a[74:75], v[178:179], v[212:215]// 000000006260: D3D700D4 0F53654A
	v_mfma_i32_16x16x32_i8 v[216:219], a[76:77], v[144:145], v[216:219]// 000000006268: D3D700D8 0F63214C
	v_mfma_i32_16x16x32_i8 v[216:219], a[78:79], v[146:147], v[216:219]// 000000006270: D3D700D8 0F63254E
	buffer_load_dwordx4 a[204:207], v45, s[12:15], 0 offen     // 000000006278: E05C1000 8083CC2D
	s_add_u32 s12, s78, s12                                    // 000000006280: 800C0C4E
	s_addc_u32 s13, 0, s13                                     // 000000006284: 820D0D80
	v_mfma_i32_16x16x32_i8 v[220:223], a[76:77], v[176:177], v[220:223]// 000000006288: D3D700DC 0F73614C
	v_mfma_i32_16x16x32_i8 v[220:223], a[78:79], v[178:179], v[220:223]// 000000006290: D3D700DC 0F73654E
	s_waitcnt vmcnt(45)                                        // 000000006298: BF8C8F7D
	v_mfma_i32_16x16x32_i8 v[192:195], a[80:81], v[148:149], v[192:195]// 00000000629C: D3D700C0 0F032950
	v_mfma_i32_16x16x32_i8 v[192:195], a[82:83], v[150:151], v[192:195]// 0000000062A4: D3D700C0 0F032D52
	buffer_load_dwordx4 a[208:211], v42, s[12:15], 0 offen     // 0000000062AC: E05C1000 8083D02A
	v_mfma_i32_16x16x32_i8 v[196:199], a[80:81], v[180:181], v[196:199]// 0000000062B4: D3D700C4 0F136950
	v_mfma_i32_16x16x32_i8 v[196:199], a[82:83], v[182:183], v[196:199]// 0000000062BC: D3D700C4 0F136D52
	v_mfma_i32_16x16x32_i8 v[200:203], a[84:85], v[148:149], v[200:203]// 0000000062C4: D3D700C8 0F232954
	v_mfma_i32_16x16x32_i8 v[200:203], a[86:87], v[150:151], v[200:203]// 0000000062CC: D3D700C8 0F232D56
	buffer_load_dwordx4 a[212:215], v43, s[12:15], 0 offen     // 0000000062D4: E05C1000 8083D42B
	v_mfma_i32_16x16x32_i8 v[204:207], a[84:85], v[180:181], v[204:207]// 0000000062DC: D3D700CC 0F336954
	v_mfma_i32_16x16x32_i8 v[204:207], a[86:87], v[182:183], v[204:207]// 0000000062E4: D3D700CC 0F336D56
	v_mfma_i32_16x16x32_i8 v[208:211], a[88:89], v[148:149], v[208:211]// 0000000062EC: D3D700D0 0F432958
	v_mfma_i32_16x16x32_i8 v[208:211], a[90:91], v[150:151], v[208:211]// 0000000062F4: D3D700D0 0F432D5A
	buffer_load_dwordx4 a[216:219], v44, s[12:15], 0 offen     // 0000000062FC: E05C1000 8083D82C
	v_mfma_i32_16x16x32_i8 v[212:215], a[88:89], v[180:181], v[212:215]// 000000006304: D3D700D4 0F536958
	v_mfma_i32_16x16x32_i8 v[212:215], a[90:91], v[182:183], v[212:215]// 00000000630C: D3D700D4 0F536D5A
	v_mfma_i32_16x16x32_i8 v[216:219], a[92:93], v[148:149], v[216:219]// 000000006314: D3D700D8 0F63295C
	v_mfma_i32_16x16x32_i8 v[216:219], a[94:95], v[150:151], v[216:219]// 00000000631C: D3D700D8 0F632D5E
	buffer_load_dwordx4 a[220:223], v45, s[12:15], 0 offen     // 000000006324: E05C1000 8083DC2D
	s_add_u32 s12, s78, s12                                    // 00000000632C: 800C0C4E
	s_addc_u32 s13, 0, s13                                     // 000000006330: 820D0D80
	v_mfma_i32_16x16x32_i8 v[220:223], a[92:93], v[180:181], v[220:223]// 000000006334: D3D700DC 0F73695C
	v_mfma_i32_16x16x32_i8 v[220:223], a[94:95], v[182:183], v[220:223]// 00000000633C: D3D700DC 0F736D5E
	s_waitcnt vmcnt(45)                                        // 000000006344: BF8C8F7D
	v_mfma_i32_16x16x32_i8 v[192:195], a[96:97], v[152:153], v[192:195]// 000000006348: D3D700C0 0F033160
	v_mfma_i32_16x16x32_i8 v[192:195], a[98:99], v[154:155], v[192:195]// 000000006350: D3D700C0 0F033562
	buffer_load_dwordx4 a[224:227], v42, s[12:15], 0 offen     // 000000006358: E05C1000 8083E02A
	v_mfma_i32_16x16x32_i8 v[196:199], a[96:97], v[184:185], v[196:199]// 000000006360: D3D700C4 0F137160
	v_mfma_i32_16x16x32_i8 v[196:199], a[98:99], v[186:187], v[196:199]// 000000006368: D3D700C4 0F137562
	v_mfma_i32_16x16x32_i8 v[200:203], a[100:101], v[152:153], v[200:203]// 000000006370: D3D700C8 0F233164
	v_mfma_i32_16x16x32_i8 v[200:203], a[102:103], v[154:155], v[200:203]// 000000006378: D3D700C8 0F233566
	buffer_load_dwordx4 a[228:231], v43, s[12:15], 0 offen     // 000000006380: E05C1000 8083E42B
	v_mfma_i32_16x16x32_i8 v[204:207], a[100:101], v[184:185], v[204:207]// 000000006388: D3D700CC 0F337164
	v_mfma_i32_16x16x32_i8 v[204:207], a[102:103], v[186:187], v[204:207]// 000000006390: D3D700CC 0F337566
	v_mfma_i32_16x16x32_i8 v[208:211], a[104:105], v[152:153], v[208:211]// 000000006398: D3D700D0 0F433168
	v_mfma_i32_16x16x32_i8 v[208:211], a[106:107], v[154:155], v[208:211]// 0000000063A0: D3D700D0 0F43356A
	buffer_load_dwordx4 a[232:235], v44, s[12:15], 0 offen     // 0000000063A8: E05C1000 8083E82C
	v_mfma_i32_16x16x32_i8 v[212:215], a[104:105], v[184:185], v[212:215]// 0000000063B0: D3D700D4 0F537168
	v_mfma_i32_16x16x32_i8 v[212:215], a[106:107], v[186:187], v[212:215]// 0000000063B8: D3D700D4 0F53756A
	v_mfma_i32_16x16x32_i8 v[216:219], a[108:109], v[152:153], v[216:219]// 0000000063C0: D3D700D8 0F63316C
	v_mfma_i32_16x16x32_i8 v[216:219], a[110:111], v[154:155], v[216:219]// 0000000063C8: D3D700D8 0F63356E
	buffer_load_dwordx4 a[236:239], v45, s[12:15], 0 offen     // 0000000063D0: E05C1000 8083EC2D
	s_add_u32 s12, s78, s12                                    // 0000000063D8: 800C0C4E
	s_addc_u32 s13, 0, s13                                     // 0000000063DC: 820D0D80
	v_mfma_i32_16x16x32_i8 v[220:223], a[108:109], v[184:185], v[220:223]// 0000000063E0: D3D700DC 0F73716C
	v_mfma_i32_16x16x32_i8 v[220:223], a[110:111], v[186:187], v[220:223]// 0000000063E8: D3D700DC 0F73756E
	s_waitcnt vmcnt(44)                                        // 0000000063F0: BF8C8F7C
	v_mfma_i32_16x16x32_i8 v[192:195], a[112:113], v[156:157], v[192:195]// 0000000063F4: D3D700C0 0F033970
	v_mfma_i32_16x16x32_i8 v[192:195], a[114:115], v[158:159], v[192:195]// 0000000063FC: D3D700C0 0F033D72
	buffer_load_dwordx4 a[240:243], v42, s[12:15], 0 offen     // 000000006404: E05C1000 8083F02A
	v_mfma_i32_16x16x32_i8 v[196:199], a[112:113], v[188:189], v[196:199]// 00000000640C: D3D700C4 0F137970
	v_mfma_i32_16x16x32_i8 v[196:199], a[114:115], v[190:191], v[196:199]// 000000006414: D3D700C4 0F137D72
	buffer_load_dword v13, v5, s[16:19], 0 offen               // 00000000641C: E0501000 80040D05
	v_mfma_i32_16x16x32_i8 v[200:203], a[116:117], v[156:157], v[200:203]// 000000006424: D3D700C8 0F233974
	v_mfma_i32_16x16x32_i8 v[200:203], a[118:119], v[158:159], v[200:203]// 00000000642C: D3D700C8 0F233D76
	buffer_load_dwordx4 a[244:247], v43, s[12:15], 0 offen     // 000000006434: E05C1000 8083F42B
	v_mfma_i32_16x16x32_i8 v[204:207], a[116:117], v[188:189], v[204:207]// 00000000643C: D3D700CC 0F337974
	v_mfma_i32_16x16x32_i8 v[204:207], a[118:119], v[190:191], v[204:207]// 000000006444: D3D700CC 0F337D76
	v_mfma_i32_16x16x32_i8 v[208:211], a[120:121], v[156:157], v[208:211]// 00000000644C: D3D700D0 0F433978
	v_mfma_i32_16x16x32_i8 v[208:211], a[122:123], v[158:159], v[208:211]// 000000006454: D3D700D0 0F433D7A
	buffer_load_dwordx4 a[248:251], v44, s[12:15], 0 offen     // 00000000645C: E05C1000 8083F82C
	v_mfma_i32_16x16x32_i8 v[212:215], a[120:121], v[188:189], v[212:215]// 000000006464: D3D700D4 0F537978
	v_mfma_i32_16x16x32_i8 v[212:215], a[122:123], v[190:191], v[212:215]// 00000000646C: D3D700D4 0F537D7A
	v_mfma_i32_16x16x32_i8 v[216:219], a[124:125], v[156:157], v[216:219]// 000000006474: D3D700D8 0F63397C
	v_mfma_i32_16x16x32_i8 v[216:219], a[126:127], v[158:159], v[216:219]// 00000000647C: D3D700D8 0F633D7E
	buffer_load_dwordx4 a[252:255], v45, s[12:15], 0 offen     // 000000006484: E05C1000 8083FC2D
	v_mfma_i32_16x16x32_i8 v[220:223], a[124:125], v[188:189], v[220:223]// 00000000648C: D3D700DC 0F73797C
	v_mfma_i32_16x16x32_i8 v[220:223], a[126:127], v[190:191], v[220:223]// 000000006494: D3D700DC 0F737D7E
	s_add_u32 s60, 0x200, s80                                  // 00000000649C: 803C50FF 00000200
	s_cmp_lt_u32 s60, s81                                      // 0000000064A4: BF0A513C
	s_cselect_b32 s56, s56, 0                                  // 0000000064A8: 85388038
	s_cselect_b32 s78, s78, 0                                  // 0000000064AC: 854E804E
	s_cselect_b32 s79, s79, 0                                  // 0000000064B0: 854F804F
	s_add_u32 s12, s56, s12                                    // 0000000064B4: 800C0C38
	s_addc_u32 s13, 0, s13                                     // 0000000064B8: 820D0D80
	s_add_u32 s16, s79, s16                                    // 0000000064BC: 8010104F
	s_addc_u32 s17, 0, s17                                     // 0000000064C0: 82111180
	v_cvt_f32_i32_e32 v192, v192                               // 0000000064C4: 7F800BC0
	v_cvt_f32_i32_e32 v193, v193                               // 0000000064C8: 7F820BC1
	v_cvt_f32_i32_e32 v194, v194                               // 0000000064CC: 7F840BC2
	v_cvt_f32_i32_e32 v195, v195                               // 0000000064D0: 7F860BC3
	v_mul_f32_e32 v192, v24, v192                              // 0000000064D4: 0B818118
	v_mul_f32_e32 v193, v24, v193                              // 0000000064D8: 0B838318
	v_mul_f32_e32 v194, v24, v194                              // 0000000064DC: 0B858518
	v_mul_f32_e32 v195, v24, v195                              // 0000000064E0: 0B878718
	v_mul_f32_dpp v192, v12, v192 row_newbcast:0 row_mask:0xf bank_mask:0xf// 0000000064E4: 0B8180FA FF01500C
	v_mul_f32_dpp v193, v12, v193 row_newbcast:1 row_mask:0xf bank_mask:0xf// 0000000064EC: 0B8382FA FF01510C
	v_mul_f32_dpp v194, v12, v194 row_newbcast:2 row_mask:0xf bank_mask:0xf// 0000000064F4: 0B8584FA FF01520C
	v_mul_f32_dpp v195, v12, v195 row_newbcast:3 row_mask:0xf bank_mask:0xf// 0000000064FC: 0B8786FA FF01530C
	v_mul_f32_e32 v192, v20, v192                              // 000000006504: 0B818114
	v_mul_f32_e32 v193, v20, v193                              // 000000006508: 0B838314
	v_mul_f32_e32 v194, v20, v194                              // 00000000650C: 0B858514
	v_mul_f32_e32 v195, v20, v195                              // 000000006510: 0B878714
	v_cvt_f32_i32_e32 v196, v196                               // 000000006514: 7F880BC4
	v_cvt_f32_i32_e32 v197, v197                               // 000000006518: 7F8A0BC5
	v_cvt_f32_i32_e32 v198, v198                               // 00000000651C: 7F8C0BC6
	v_cvt_f32_i32_e32 v199, v199                               // 000000006520: 7F8E0BC7
	v_mul_f32_e32 v196, v25, v196                              // 000000006524: 0B898919
	v_mul_f32_e32 v197, v25, v197                              // 000000006528: 0B8B8B19
	v_mul_f32_e32 v198, v25, v198                              // 00000000652C: 0B8D8D19
	v_mul_f32_e32 v199, v25, v199                              // 000000006530: 0B8F8F19
	v_mul_f32_dpp v196, v12, v196 row_newbcast:0 row_mask:0xf bank_mask:0xf// 000000006534: 0B8988FA FF01500C
	v_mul_f32_dpp v197, v12, v197 row_newbcast:1 row_mask:0xf bank_mask:0xf// 00000000653C: 0B8B8AFA FF01510C
	v_mul_f32_dpp v198, v12, v198 row_newbcast:2 row_mask:0xf bank_mask:0xf// 000000006544: 0B8D8CFA FF01520C
	v_mul_f32_dpp v199, v12, v199 row_newbcast:3 row_mask:0xf bank_mask:0xf// 00000000654C: 0B8F8EFA FF01530C
	v_mul_f32_e32 v196, v21, v196                              // 000000006554: 0B898915
	v_mul_f32_e32 v197, v21, v197                              // 000000006558: 0B8B8B15
	v_mul_f32_e32 v198, v21, v198                              // 00000000655C: 0B8D8D15
	v_mul_f32_e32 v199, v21, v199                              // 000000006560: 0B8F8F15
	v_cvt_f32_i32_e32 v200, v200                               // 000000006564: 7F900BC8
	v_cvt_f32_i32_e32 v201, v201                               // 000000006568: 7F920BC9
	v_cvt_f32_i32_e32 v202, v202                               // 00000000656C: 7F940BCA
	v_cvt_f32_i32_e32 v203, v203                               // 000000006570: 7F960BCB
	v_mul_f32_e32 v200, v24, v200                              // 000000006574: 0B919118
	v_mul_f32_e32 v201, v24, v201                              // 000000006578: 0B939318
	v_mul_f32_e32 v202, v24, v202                              // 00000000657C: 0B959518
	v_mul_f32_e32 v203, v24, v203                              // 000000006580: 0B979718
	v_mul_f32_dpp v200, v12, v200 row_newbcast:4 row_mask:0xf bank_mask:0xf// 000000006584: 0B9190FA FF01540C
	v_mul_f32_dpp v201, v12, v201 row_newbcast:5 row_mask:0xf bank_mask:0xf// 00000000658C: 0B9392FA FF01550C
	v_mul_f32_dpp v202, v12, v202 row_newbcast:6 row_mask:0xf bank_mask:0xf// 000000006594: 0B9594FA FF01560C
	v_mul_f32_dpp v203, v12, v203 row_newbcast:7 row_mask:0xf bank_mask:0xf// 00000000659C: 0B9796FA FF01570C
	v_mul_f32_e32 v200, v20, v200                              // 0000000065A4: 0B919114
	v_mul_f32_e32 v201, v20, v201                              // 0000000065A8: 0B939314
	v_mul_f32_e32 v202, v20, v202                              // 0000000065AC: 0B959514
	v_mul_f32_e32 v203, v20, v203                              // 0000000065B0: 0B979714
	v_cvt_f32_i32_e32 v204, v204                               // 0000000065B4: 7F980BCC
	v_cvt_f32_i32_e32 v205, v205                               // 0000000065B8: 7F9A0BCD
	v_cvt_f32_i32_e32 v206, v206                               // 0000000065BC: 7F9C0BCE
	v_cvt_f32_i32_e32 v207, v207                               // 0000000065C0: 7F9E0BCF
	v_mul_f32_e32 v204, v25, v204                              // 0000000065C4: 0B999919
	v_mul_f32_e32 v205, v25, v205                              // 0000000065C8: 0B9B9B19
	v_mul_f32_e32 v206, v25, v206                              // 0000000065CC: 0B9D9D19
	v_mul_f32_e32 v207, v25, v207                              // 0000000065D0: 0B9F9F19
	v_mul_f32_dpp v204, v12, v204 row_newbcast:4 row_mask:0xf bank_mask:0xf// 0000000065D4: 0B9998FA FF01540C
	v_mul_f32_dpp v205, v12, v205 row_newbcast:5 row_mask:0xf bank_mask:0xf// 0000000065DC: 0B9B9AFA FF01550C
	v_mul_f32_dpp v206, v12, v206 row_newbcast:6 row_mask:0xf bank_mask:0xf// 0000000065E4: 0B9D9CFA FF01560C
	v_mul_f32_dpp v207, v12, v207 row_newbcast:7 row_mask:0xf bank_mask:0xf// 0000000065EC: 0B9F9EFA FF01570C
	v_mul_f32_e32 v204, v21, v204                              // 0000000065F4: 0B999915
	v_mul_f32_e32 v205, v21, v205                              // 0000000065F8: 0B9B9B15
	v_mul_f32_e32 v206, v21, v206                              // 0000000065FC: 0B9D9D15
	v_mul_f32_e32 v207, v21, v207                              // 000000006600: 0B9F9F15
	v_cvt_f32_i32_e32 v208, v208                               // 000000006604: 7FA00BD0
	v_cvt_f32_i32_e32 v209, v209                               // 000000006608: 7FA20BD1
	v_cvt_f32_i32_e32 v210, v210                               // 00000000660C: 7FA40BD2
	v_cvt_f32_i32_e32 v211, v211                               // 000000006610: 7FA60BD3
	v_mul_f32_e32 v208, v24, v208                              // 000000006614: 0BA1A118
	v_mul_f32_e32 v209, v24, v209                              // 000000006618: 0BA3A318
	v_mul_f32_e32 v210, v24, v210                              // 00000000661C: 0BA5A518
	v_mul_f32_e32 v211, v24, v211                              // 000000006620: 0BA7A718
	v_mul_f32_dpp v208, v12, v208 row_newbcast:8 row_mask:0xf bank_mask:0xf// 000000006624: 0BA1A0FA FF01580C
	v_mul_f32_dpp v209, v12, v209 row_newbcast:9 row_mask:0xf bank_mask:0xf// 00000000662C: 0BA3A2FA FF01590C
	v_mul_f32_dpp v210, v12, v210 row_newbcast:10 row_mask:0xf bank_mask:0xf// 000000006634: 0BA5A4FA FF015A0C
	v_mul_f32_dpp v211, v12, v211 row_newbcast:11 row_mask:0xf bank_mask:0xf// 00000000663C: 0BA7A6FA FF015B0C
	v_mul_f32_e32 v208, v20, v208                              // 000000006644: 0BA1A114
	v_mul_f32_e32 v209, v20, v209                              // 000000006648: 0BA3A314
	v_mul_f32_e32 v210, v20, v210                              // 00000000664C: 0BA5A514
	v_mul_f32_e32 v211, v20, v211                              // 000000006650: 0BA7A714
	v_cvt_f32_i32_e32 v212, v212                               // 000000006654: 7FA80BD4
	v_cvt_f32_i32_e32 v213, v213                               // 000000006658: 7FAA0BD5
	v_cvt_f32_i32_e32 v214, v214                               // 00000000665C: 7FAC0BD6
	v_cvt_f32_i32_e32 v215, v215                               // 000000006660: 7FAE0BD7
	v_mul_f32_e32 v212, v25, v212                              // 000000006664: 0BA9A919
	v_mul_f32_e32 v213, v25, v213                              // 000000006668: 0BABAB19
	v_mul_f32_e32 v214, v25, v214                              // 00000000666C: 0BADAD19
	v_mul_f32_e32 v215, v25, v215                              // 000000006670: 0BAFAF19
	v_mul_f32_dpp v212, v12, v212 row_newbcast:8 row_mask:0xf bank_mask:0xf// 000000006674: 0BA9A8FA FF01580C
	v_mul_f32_dpp v213, v12, v213 row_newbcast:9 row_mask:0xf bank_mask:0xf// 00000000667C: 0BABAAFA FF01590C
	v_mul_f32_dpp v214, v12, v214 row_newbcast:10 row_mask:0xf bank_mask:0xf// 000000006684: 0BADACFA FF015A0C
	v_mul_f32_dpp v215, v12, v215 row_newbcast:11 row_mask:0xf bank_mask:0xf// 00000000668C: 0BAFAEFA FF015B0C
	v_mul_f32_e32 v212, v21, v212                              // 000000006694: 0BA9A915
	v_mul_f32_e32 v213, v21, v213                              // 000000006698: 0BABAB15
	v_mul_f32_e32 v214, v21, v214                              // 00000000669C: 0BADAD15
	v_mul_f32_e32 v215, v21, v215                              // 0000000066A0: 0BAFAF15
	v_cvt_f32_i32_e32 v216, v216                               // 0000000066A4: 7FB00BD8
	v_cvt_f32_i32_e32 v217, v217                               // 0000000066A8: 7FB20BD9
	v_cvt_f32_i32_e32 v218, v218                               // 0000000066AC: 7FB40BDA
	v_cvt_f32_i32_e32 v219, v219                               // 0000000066B0: 7FB60BDB
	v_mul_f32_e32 v216, v24, v216                              // 0000000066B4: 0BB1B118
	v_mul_f32_e32 v217, v24, v217                              // 0000000066B8: 0BB3B318
	v_mul_f32_e32 v218, v24, v218                              // 0000000066BC: 0BB5B518
	v_mul_f32_e32 v219, v24, v219                              // 0000000066C0: 0BB7B718
	v_mul_f32_dpp v216, v12, v216 row_newbcast:12 row_mask:0xf bank_mask:0xf// 0000000066C4: 0BB1B0FA FF015C0C
	v_mul_f32_dpp v217, v12, v217 row_newbcast:13 row_mask:0xf bank_mask:0xf// 0000000066CC: 0BB3B2FA FF015D0C
	v_mul_f32_dpp v218, v12, v218 row_newbcast:14 row_mask:0xf bank_mask:0xf// 0000000066D4: 0BB5B4FA FF015E0C
	v_mul_f32_dpp v219, v12, v219 row_newbcast:15 row_mask:0xf bank_mask:0xf// 0000000066DC: 0BB7B6FA FF015F0C
	v_mul_f32_e32 v216, v20, v216                              // 0000000066E4: 0BB1B114
	v_mul_f32_e32 v217, v20, v217                              // 0000000066E8: 0BB3B314
	v_mul_f32_e32 v218, v20, v218                              // 0000000066EC: 0BB5B514
	v_mul_f32_e32 v219, v20, v219                              // 0000000066F0: 0BB7B714
	v_cvt_f32_i32_e32 v220, v220                               // 0000000066F4: 7FB80BDC
	v_cvt_f32_i32_e32 v221, v221                               // 0000000066F8: 7FBA0BDD
	v_cvt_f32_i32_e32 v222, v222                               // 0000000066FC: 7FBC0BDE
	v_cvt_f32_i32_e32 v223, v223                               // 000000006700: 7FBE0BDF
	v_mul_f32_e32 v220, v25, v220                              // 000000006704: 0BB9B919
	v_mul_f32_e32 v221, v25, v221                              // 000000006708: 0BBBBB19
	v_mul_f32_e32 v222, v25, v222                              // 00000000670C: 0BBDBD19
	v_mul_f32_e32 v223, v25, v223                              // 000000006710: 0BBFBF19
	v_mul_f32_dpp v220, v12, v220 row_newbcast:12 row_mask:0xf bank_mask:0xf// 000000006714: 0BB9B8FA FF015C0C
	v_mul_f32_dpp v221, v12, v221 row_newbcast:13 row_mask:0xf bank_mask:0xf// 00000000671C: 0BBBBAFA FF015D0C
	v_mul_f32_dpp v222, v12, v222 row_newbcast:14 row_mask:0xf bank_mask:0xf// 000000006724: 0BBDBCFA FF015E0C
	v_mul_f32_dpp v223, v12, v223 row_newbcast:15 row_mask:0xf bank_mask:0xf// 00000000672C: 0BBFBEFA FF015F0C
	v_mul_f32_e32 v220, v21, v220                              // 000000006734: 0BB9B915
	v_mul_f32_e32 v221, v21, v221                              // 000000006738: 0BBBBB15
	v_mul_f32_e32 v222, v21, v222                              // 00000000673C: 0BBDBD15
	v_mul_f32_e32 v223, v21, v223                              // 000000006740: 0BBFBF15
	v_cvt_pkrtz_f16_f32 v192, v192, v193                       // 000000006744: D29600C0 000383C0
	v_cvt_pkrtz_f16_f32 v193, v194, v195                       // 00000000674C: D29600C1 000387C2
	v_cvt_pkrtz_f16_f32 v194, v196, v197                       // 000000006754: D29600C2 00038BC4
	v_cvt_pkrtz_f16_f32 v195, v198, v199                       // 00000000675C: D29600C3 00038FC6
	v_cvt_pkrtz_f16_f32 v196, v200, v201                       // 000000006764: D29600C4 000393C8
	v_cvt_pkrtz_f16_f32 v197, v202, v203                       // 00000000676C: D29600C5 000397CA
	v_cvt_pkrtz_f16_f32 v198, v204, v205                       // 000000006774: D29600C6 00039BCC
	v_cvt_pkrtz_f16_f32 v199, v206, v207                       // 00000000677C: D29600C7 00039FCE
	v_cvt_pkrtz_f16_f32 v200, v208, v209                       // 000000006784: D29600C8 0003A3D0
	v_cvt_pkrtz_f16_f32 v201, v210, v211                       // 00000000678C: D29600C9 0003A7D2
	v_cvt_pkrtz_f16_f32 v202, v212, v213                       // 000000006794: D29600CA 0003ABD4
	v_cvt_pkrtz_f16_f32 v203, v214, v215                       // 00000000679C: D29600CB 0003AFD6
	v_cvt_pkrtz_f16_f32 v204, v216, v217                       // 0000000067A4: D29600CC 0003B3D8
	v_cvt_pkrtz_f16_f32 v205, v218, v219                       // 0000000067AC: D29600CD 0003B7DA
	v_cvt_pkrtz_f16_f32 v206, v220, v221                       // 0000000067B4: D29600CE 0003BBDC
	v_cvt_pkrtz_f16_f32 v207, v222, v223                       // 0000000067BC: D29600CF 0003BFDE
	ds_write_b64 v3, v[192:193] offset:35072                   // 0000000067C4: D89A8900 0000C003
	ds_write_b64 v3, v[194:195] offset:43776                   // 0000000067CC: D89AAB00 0000C203
	ds_write_b64 v3, v[196:197] offset:37248                   // 0000000067D4: D89A9180 0000C403
	ds_write_b64 v3, v[198:199] offset:45952                   // 0000000067DC: D89AB380 0000C603
	ds_write_b64 v3, v[200:201] offset:39424                   // 0000000067E4: D89A9A00 0000C803
	ds_write_b64 v3, v[202:203] offset:48128                   // 0000000067EC: D89ABC00 0000CA03
	ds_write_b64 v3, v[204:205] offset:41600                   // 0000000067F4: D89AA280 0000CC03
	ds_write_b64 v3, v[206:207] offset:50304                   // 0000000067FC: D89AC480 0000CE03
	s_waitcnt lgkmcnt(0)                                       // 000000006804: BF8CC07F
	s_barrier                                                  // 000000006808: BF8A0000
	ds_read_b32 v64, v4 offset:35072                           // 00000000680C: D86C8900 40000004
	ds_read_b32 v65, v4 offset:39424                           // 000000006814: D86C9A00 41000004
	ds_read_b32 v66, v4 offset:35104                           // 00000000681C: D86C8920 42000004
	ds_read_b32 v67, v4 offset:39456                           // 000000006824: D86C9A20 43000004
	ds_read_b32 v68, v4 offset:35136                           // 00000000682C: D86C8940 44000004
	ds_read_b32 v69, v4 offset:39488                           // 000000006834: D86C9A40 45000004
	ds_read_b32 v70, v4 offset:35168                           // 00000000683C: D86C8960 46000004
	ds_read_b32 v71, v4 offset:39520                           // 000000006844: D86C9A60 47000004
	ds_read_b32 v72, v4 offset:43776                           // 00000000684C: D86CAB00 48000004
	ds_read_b32 v73, v4 offset:48128                           // 000000006854: D86CBC00 49000004
	ds_read_b32 v74, v4 offset:43808                           // 00000000685C: D86CAB20 4A000004
	ds_read_b32 v75, v4 offset:48160                           // 000000006864: D86CBC20 4B000004
	ds_read_b32 v76, v4 offset:43840                           // 00000000686C: D86CAB40 4C000004
	ds_read_b32 v77, v4 offset:48192                           // 000000006874: D86CBC40 4D000004
	ds_read_b32 v78, v4 offset:43872                           // 00000000687C: D86CAB60 4E000004
	ds_read_b32 v79, v4 offset:48224                           // 000000006884: D86CBC60 4F000004
	s_waitcnt lgkmcnt(0)                                       // 00000000688C: BF8CC07F
	s_mov_b64 exec, s[20:21]                                   // 000000006890: BEFE0114
	global_atomic_pk_add_f16 v80, v64, s[8:9]                  // 000000006894: DD388000 00084050
	s_mov_b64 exec, s[36:37]                                   // 00000000689C: BEFE0124
	s_mov_b64 exec, s[20:21]                                   // 0000000068A0: BEFE0114
	global_atomic_pk_add_f16 v80, v65, s[8:9] offset:256       // 0000000068A4: DD388100 00084150
	s_mov_b64 exec, s[36:37]                                   // 0000000068AC: BEFE0124
	s_mov_b64 exec, s[22:23]                                   // 0000000068B0: BEFE0116
	global_atomic_pk_add_f16 v82, v66, s[8:9]                  // 0000000068B4: DD388000 00084252
	s_mov_b64 exec, s[36:37]                                   // 0000000068BC: BEFE0124
	s_mov_b64 exec, s[22:23]                                   // 0000000068C0: BEFE0116
	global_atomic_pk_add_f16 v82, v67, s[8:9] offset:256       // 0000000068C4: DD388100 00084352
	s_mov_b64 exec, s[36:37]                                   // 0000000068CC: BEFE0124
	s_mov_b64 exec, s[24:25]                                   // 0000000068D0: BEFE0118
	global_atomic_pk_add_f16 v84, v68, s[8:9]                  // 0000000068D4: DD388000 00084454
	s_mov_b64 exec, s[36:37]                                   // 0000000068DC: BEFE0124
	s_mov_b64 exec, s[24:25]                                   // 0000000068E0: BEFE0118
	global_atomic_pk_add_f16 v84, v69, s[8:9] offset:256       // 0000000068E4: DD388100 00084554
	s_mov_b64 exec, s[36:37]                                   // 0000000068EC: BEFE0124
	s_mov_b64 exec, s[26:27]                                   // 0000000068F0: BEFE011A
	global_atomic_pk_add_f16 v86, v70, s[8:9]                  // 0000000068F4: DD388000 00084656
	s_mov_b64 exec, s[36:37]                                   // 0000000068FC: BEFE0124
	s_mov_b64 exec, s[26:27]                                   // 000000006900: BEFE011A
	global_atomic_pk_add_f16 v86, v71, s[8:9] offset:256       // 000000006904: DD388100 00084756
	s_mov_b64 exec, s[36:37]                                   // 00000000690C: BEFE0124
	s_mov_b64 exec, s[28:29]                                   // 000000006910: BEFE011C
	global_atomic_pk_add_f16 v88, v72, s[8:9]                  // 000000006914: DD388000 00084858
	s_mov_b64 exec, s[36:37]                                   // 00000000691C: BEFE0124
	s_mov_b64 exec, s[28:29]                                   // 000000006920: BEFE011C
	global_atomic_pk_add_f16 v88, v73, s[8:9] offset:256       // 000000006924: DD388100 00084958
	s_mov_b64 exec, s[36:37]                                   // 00000000692C: BEFE0124
	s_mov_b64 exec, s[30:31]                                   // 000000006930: BEFE011E
	global_atomic_pk_add_f16 v90, v74, s[8:9]                  // 000000006934: DD388000 00084A5A
	s_mov_b64 exec, s[36:37]                                   // 00000000693C: BEFE0124
	s_mov_b64 exec, s[30:31]                                   // 000000006940: BEFE011E
	global_atomic_pk_add_f16 v90, v75, s[8:9] offset:256       // 000000006944: DD388100 00084B5A
	s_mov_b64 exec, s[36:37]                                   // 00000000694C: BEFE0124
	s_mov_b64 exec, s[32:33]                                   // 000000006950: BEFE0120
	global_atomic_pk_add_f16 v92, v76, s[8:9]                  // 000000006954: DD388000 00084C5C
	s_mov_b64 exec, s[36:37]                                   // 00000000695C: BEFE0124
	s_mov_b64 exec, s[32:33]                                   // 000000006960: BEFE0120
	global_atomic_pk_add_f16 v92, v77, s[8:9] offset:256       // 000000006964: DD388100 00084D5C
	s_mov_b64 exec, s[36:37]                                   // 00000000696C: BEFE0124
	s_mov_b64 exec, s[34:35]                                   // 000000006970: BEFE0122
	global_atomic_pk_add_f16 v94, v78, s[8:9]                  // 000000006974: DD388000 00084E5E
	s_mov_b64 exec, s[36:37]                                   // 00000000697C: BEFE0124
	s_mov_b64 exec, s[34:35]                                   // 000000006980: BEFE0122
	global_atomic_pk_add_f16 v94, v79, s[8:9] offset:256       // 000000006984: DD388100 00084F5E
	s_mov_b64 exec, s[36:37]                                   // 00000000698C: BEFE0124
	s_add_u32 s8, s59, s8                                      // 000000006990: 8008083B
	s_addc_u32 s9, 0, s9                                       // 000000006994: 82090980
	s_addk_i32 s80, 0x100                                      // 000000006998: B7500100
	s_cmp_lt_i32 s80, s81                                      // 00000000699C: BF045150
	s_cbranch_scc0 label_1185                                  // 0000000069A0: BF84029C
	s_waitcnt vmcnt(45)                                        // 0000000069A4: BF8C8F7D
	s_barrier                                                  // 0000000069A8: BF8A0000
	v_mfma_i32_16x16x32_i8 v[224:227], a[128:129], v[128:129], 0// 0000000069AC: D3D700E0 0A030180
	v_mfma_i32_16x16x32_i8 v[224:227], a[130:131], v[130:131], v[224:227]// 0000000069B4: D3D700E0 0F830582
	buffer_load_dwordx4 a[0:3], v42, s[12:15], 0 offen         // 0000000069BC: E05C1000 8083002A
	v_mfma_i32_16x16x32_i8 v[228:231], a[128:129], v[160:161], 0// 0000000069C4: D3D700E4 0A034180
	v_mfma_i32_16x16x32_i8 v[228:231], a[130:131], v[162:163], v[228:231]// 0000000069CC: D3D700E4 0F934582
	v_mfma_i32_16x16x32_i8 v[232:235], a[132:133], v[128:129], 0// 0000000069D4: D3D700E8 0A030184
	v_mfma_i32_16x16x32_i8 v[232:235], a[134:135], v[130:131], v[232:235]// 0000000069DC: D3D700E8 0FA30586
	buffer_load_dwordx4 a[4:7], v43, s[12:15], 0 offen         // 0000000069E4: E05C1000 8083042B
	v_mfma_i32_16x16x32_i8 v[236:239], a[132:133], v[160:161], 0// 0000000069EC: D3D700EC 0A034184
	v_mfma_i32_16x16x32_i8 v[236:239], a[134:135], v[162:163], v[236:239]// 0000000069F4: D3D700EC 0FB34586
	v_mfma_i32_16x16x32_i8 v[240:243], a[136:137], v[128:129], 0// 0000000069FC: D3D700F0 0A030188
	v_mfma_i32_16x16x32_i8 v[240:243], a[138:139], v[130:131], v[240:243]// 000000006A04: D3D700F0 0FC3058A
	buffer_load_dwordx4 a[8:11], v44, s[12:15], 0 offen        // 000000006A0C: E05C1000 8083082C
	v_mfma_i32_16x16x32_i8 v[244:247], a[136:137], v[160:161], 0// 000000006A14: D3D700F4 0A034188
	v_mfma_i32_16x16x32_i8 v[244:247], a[138:139], v[162:163], v[244:247]// 000000006A1C: D3D700F4 0FD3458A
	v_mfma_i32_16x16x32_i8 v[248:251], a[140:141], v[128:129], 0// 000000006A24: D3D700F8 0A03018C
	v_mfma_i32_16x16x32_i8 v[248:251], a[142:143], v[130:131], v[248:251]// 000000006A2C: D3D700F8 0FE3058E
	buffer_load_dwordx4 a[12:15], v45, s[12:15], 0 offen       // 000000006A34: E05C1000 80830C2D
	s_add_u32 s12, s78, s12                                    // 000000006A3C: 800C0C4E
	s_addc_u32 s13, 0, s13                                     // 000000006A40: 820D0D80
	v_mfma_i32_16x16x32_i8 v[252:255], a[140:141], v[160:161], 0// 000000006A44: D3D700FC 0A03418C
	v_mfma_i32_16x16x32_i8 v[252:255], a[142:143], v[162:163], v[252:255]// 000000006A4C: D3D700FC 0FF3458E
	s_waitcnt vmcnt(45)                                        // 000000006A54: BF8C8F7D
	v_mfma_i32_16x16x32_i8 v[224:227], a[144:145], v[132:133], v[224:227]// 000000006A58: D3D700E0 0F830990
	v_mfma_i32_16x16x32_i8 v[224:227], a[146:147], v[134:135], v[224:227]// 000000006A60: D3D700E0 0F830D92
	buffer_load_dwordx4 a[16:19], v42, s[12:15], 0 offen       // 000000006A68: E05C1000 8083102A
	v_mfma_i32_16x16x32_i8 v[228:231], a[144:145], v[164:165], v[228:231]// 000000006A70: D3D700E4 0F934990
	v_mfma_i32_16x16x32_i8 v[228:231], a[146:147], v[166:167], v[228:231]// 000000006A78: D3D700E4 0F934D92
	v_mfma_i32_16x16x32_i8 v[232:235], a[148:149], v[132:133], v[232:235]// 000000006A80: D3D700E8 0FA30994
	v_mfma_i32_16x16x32_i8 v[232:235], a[150:151], v[134:135], v[232:235]// 000000006A88: D3D700E8 0FA30D96
	buffer_load_dwordx4 a[20:23], v43, s[12:15], 0 offen       // 000000006A90: E05C1000 8083142B
	v_mfma_i32_16x16x32_i8 v[236:239], a[148:149], v[164:165], v[236:239]// 000000006A98: D3D700EC 0FB34994
	v_mfma_i32_16x16x32_i8 v[236:239], a[150:151], v[166:167], v[236:239]// 000000006AA0: D3D700EC 0FB34D96
	v_mfma_i32_16x16x32_i8 v[240:243], a[152:153], v[132:133], v[240:243]// 000000006AA8: D3D700F0 0FC30998
	v_mfma_i32_16x16x32_i8 v[240:243], a[154:155], v[134:135], v[240:243]// 000000006AB0: D3D700F0 0FC30D9A
	buffer_load_dwordx4 a[24:27], v44, s[12:15], 0 offen       // 000000006AB8: E05C1000 8083182C
	v_mfma_i32_16x16x32_i8 v[244:247], a[152:153], v[164:165], v[244:247]// 000000006AC0: D3D700F4 0FD34998
	v_mfma_i32_16x16x32_i8 v[244:247], a[154:155], v[166:167], v[244:247]// 000000006AC8: D3D700F4 0FD34D9A
	v_mfma_i32_16x16x32_i8 v[248:251], a[156:157], v[132:133], v[248:251]// 000000006AD0: D3D700F8 0FE3099C
	v_mfma_i32_16x16x32_i8 v[248:251], a[158:159], v[134:135], v[248:251]// 000000006AD8: D3D700F8 0FE30D9E
	buffer_load_dwordx4 a[28:31], v45, s[12:15], 0 offen       // 000000006AE0: E05C1000 80831C2D
	s_add_u32 s12, s78, s12                                    // 000000006AE8: 800C0C4E
	s_addc_u32 s13, 0, s13                                     // 000000006AEC: 820D0D80
	v_mfma_i32_16x16x32_i8 v[252:255], a[156:157], v[164:165], v[252:255]// 000000006AF0: D3D700FC 0FF3499C
	v_mfma_i32_16x16x32_i8 v[252:255], a[158:159], v[166:167], v[252:255]// 000000006AF8: D3D700FC 0FF34D9E
	s_waitcnt vmcnt(45)                                        // 000000006B00: BF8C8F7D
	v_mfma_i32_16x16x32_i8 v[224:227], a[160:161], v[136:137], v[224:227]// 000000006B04: D3D700E0 0F8311A0
	v_mfma_i32_16x16x32_i8 v[224:227], a[162:163], v[138:139], v[224:227]// 000000006B0C: D3D700E0 0F8315A2
	buffer_load_dwordx4 a[32:35], v42, s[12:15], 0 offen       // 000000006B14: E05C1000 8083202A
	v_mfma_i32_16x16x32_i8 v[228:231], a[160:161], v[168:169], v[228:231]// 000000006B1C: D3D700E4 0F9351A0
	v_mfma_i32_16x16x32_i8 v[228:231], a[162:163], v[170:171], v[228:231]// 000000006B24: D3D700E4 0F9355A2
	v_mfma_i32_16x16x32_i8 v[232:235], a[164:165], v[136:137], v[232:235]// 000000006B2C: D3D700E8 0FA311A4
	v_mfma_i32_16x16x32_i8 v[232:235], a[166:167], v[138:139], v[232:235]// 000000006B34: D3D700E8 0FA315A6
	buffer_load_dwordx4 a[36:39], v43, s[12:15], 0 offen       // 000000006B3C: E05C1000 8083242B
	v_mfma_i32_16x16x32_i8 v[236:239], a[164:165], v[168:169], v[236:239]// 000000006B44: D3D700EC 0FB351A4
	v_mfma_i32_16x16x32_i8 v[236:239], a[166:167], v[170:171], v[236:239]// 000000006B4C: D3D700EC 0FB355A6
	v_mfma_i32_16x16x32_i8 v[240:243], a[168:169], v[136:137], v[240:243]// 000000006B54: D3D700F0 0FC311A8
	v_mfma_i32_16x16x32_i8 v[240:243], a[170:171], v[138:139], v[240:243]// 000000006B5C: D3D700F0 0FC315AA
	buffer_load_dwordx4 a[40:43], v44, s[12:15], 0 offen       // 000000006B64: E05C1000 8083282C
	v_mfma_i32_16x16x32_i8 v[244:247], a[168:169], v[168:169], v[244:247]// 000000006B6C: D3D700F4 0FD351A8
	v_mfma_i32_16x16x32_i8 v[244:247], a[170:171], v[170:171], v[244:247]// 000000006B74: D3D700F4 0FD355AA
	v_mfma_i32_16x16x32_i8 v[248:251], a[172:173], v[136:137], v[248:251]// 000000006B7C: D3D700F8 0FE311AC
	v_mfma_i32_16x16x32_i8 v[248:251], a[174:175], v[138:139], v[248:251]// 000000006B84: D3D700F8 0FE315AE
	buffer_load_dwordx4 a[44:47], v45, s[12:15], 0 offen       // 000000006B8C: E05C1000 80832C2D
	s_add_u32 s12, s78, s12                                    // 000000006B94: 800C0C4E
	s_addc_u32 s13, 0, s13                                     // 000000006B98: 820D0D80
	v_mfma_i32_16x16x32_i8 v[252:255], a[172:173], v[168:169], v[252:255]// 000000006B9C: D3D700FC 0FF351AC
	v_mfma_i32_16x16x32_i8 v[252:255], a[174:175], v[170:171], v[252:255]// 000000006BA4: D3D700FC 0FF355AE
	s_waitcnt vmcnt(45)                                        // 000000006BAC: BF8C8F7D
	v_mfma_i32_16x16x32_i8 v[224:227], a[176:177], v[140:141], v[224:227]// 000000006BB0: D3D700E0 0F8319B0
	v_mfma_i32_16x16x32_i8 v[224:227], a[178:179], v[142:143], v[224:227]// 000000006BB8: D3D700E0 0F831DB2
	buffer_load_dwordx4 a[48:51], v42, s[12:15], 0 offen       // 000000006BC0: E05C1000 8083302A
	v_mfma_i32_16x16x32_i8 v[228:231], a[176:177], v[172:173], v[228:231]// 000000006BC8: D3D700E4 0F9359B0
	v_mfma_i32_16x16x32_i8 v[228:231], a[178:179], v[174:175], v[228:231]// 000000006BD0: D3D700E4 0F935DB2
	v_mfma_i32_16x16x32_i8 v[232:235], a[180:181], v[140:141], v[232:235]// 000000006BD8: D3D700E8 0FA319B4
	v_mfma_i32_16x16x32_i8 v[232:235], a[182:183], v[142:143], v[232:235]// 000000006BE0: D3D700E8 0FA31DB6
	buffer_load_dwordx4 a[52:55], v43, s[12:15], 0 offen       // 000000006BE8: E05C1000 8083342B
	v_mfma_i32_16x16x32_i8 v[236:239], a[180:181], v[172:173], v[236:239]// 000000006BF0: D3D700EC 0FB359B4
	v_mfma_i32_16x16x32_i8 v[236:239], a[182:183], v[174:175], v[236:239]// 000000006BF8: D3D700EC 0FB35DB6
	v_mfma_i32_16x16x32_i8 v[240:243], a[184:185], v[140:141], v[240:243]// 000000006C00: D3D700F0 0FC319B8
	v_mfma_i32_16x16x32_i8 v[240:243], a[186:187], v[142:143], v[240:243]// 000000006C08: D3D700F0 0FC31DBA
	buffer_load_dwordx4 a[56:59], v44, s[12:15], 0 offen       // 000000006C10: E05C1000 8083382C
	v_mfma_i32_16x16x32_i8 v[244:247], a[184:185], v[172:173], v[244:247]// 000000006C18: D3D700F4 0FD359B8
	v_mfma_i32_16x16x32_i8 v[244:247], a[186:187], v[174:175], v[244:247]// 000000006C20: D3D700F4 0FD35DBA
	v_mfma_i32_16x16x32_i8 v[248:251], a[188:189], v[140:141], v[248:251]// 000000006C28: D3D700F8 0FE319BC
	v_mfma_i32_16x16x32_i8 v[248:251], a[190:191], v[142:143], v[248:251]// 000000006C30: D3D700F8 0FE31DBE
	buffer_load_dwordx4 a[60:63], v45, s[12:15], 0 offen       // 000000006C38: E05C1000 80833C2D
	s_add_u32 s12, s78, s12                                    // 000000006C40: 800C0C4E
	s_addc_u32 s13, 0, s13                                     // 000000006C44: 820D0D80
	v_mfma_i32_16x16x32_i8 v[252:255], a[188:189], v[172:173], v[252:255]// 000000006C48: D3D700FC 0FF359BC
	v_mfma_i32_16x16x32_i8 v[252:255], a[190:191], v[174:175], v[252:255]// 000000006C50: D3D700FC 0FF35DBE
	s_waitcnt vmcnt(45)                                        // 000000006C58: BF8C8F7D
	v_mfma_i32_16x16x32_i8 v[224:227], a[192:193], v[144:145], v[224:227]// 000000006C5C: D3D700E0 0F8321C0
	v_mfma_i32_16x16x32_i8 v[224:227], a[194:195], v[146:147], v[224:227]// 000000006C64: D3D700E0 0F8325C2
	buffer_load_dwordx4 a[64:67], v42, s[12:15], 0 offen       // 000000006C6C: E05C1000 8083402A
	v_mfma_i32_16x16x32_i8 v[228:231], a[192:193], v[176:177], v[228:231]// 000000006C74: D3D700E4 0F9361C0
	v_mfma_i32_16x16x32_i8 v[228:231], a[194:195], v[178:179], v[228:231]// 000000006C7C: D3D700E4 0F9365C2
	v_mfma_i32_16x16x32_i8 v[232:235], a[196:197], v[144:145], v[232:235]// 000000006C84: D3D700E8 0FA321C4
	v_mfma_i32_16x16x32_i8 v[232:235], a[198:199], v[146:147], v[232:235]// 000000006C8C: D3D700E8 0FA325C6
	buffer_load_dwordx4 a[68:71], v43, s[12:15], 0 offen       // 000000006C94: E05C1000 8083442B
	v_mfma_i32_16x16x32_i8 v[236:239], a[196:197], v[176:177], v[236:239]// 000000006C9C: D3D700EC 0FB361C4
	v_mfma_i32_16x16x32_i8 v[236:239], a[198:199], v[178:179], v[236:239]// 000000006CA4: D3D700EC 0FB365C6
	v_mfma_i32_16x16x32_i8 v[240:243], a[200:201], v[144:145], v[240:243]// 000000006CAC: D3D700F0 0FC321C8
	v_mfma_i32_16x16x32_i8 v[240:243], a[202:203], v[146:147], v[240:243]// 000000006CB4: D3D700F0 0FC325CA
	buffer_load_dwordx4 a[72:75], v44, s[12:15], 0 offen       // 000000006CBC: E05C1000 8083482C
	v_mfma_i32_16x16x32_i8 v[244:247], a[200:201], v[176:177], v[244:247]// 000000006CC4: D3D700F4 0FD361C8
	v_mfma_i32_16x16x32_i8 v[244:247], a[202:203], v[178:179], v[244:247]// 000000006CCC: D3D700F4 0FD365CA
	v_mfma_i32_16x16x32_i8 v[248:251], a[204:205], v[144:145], v[248:251]// 000000006CD4: D3D700F8 0FE321CC
	v_mfma_i32_16x16x32_i8 v[248:251], a[206:207], v[146:147], v[248:251]// 000000006CDC: D3D700F8 0FE325CE
	buffer_load_dwordx4 a[76:79], v45, s[12:15], 0 offen       // 000000006CE4: E05C1000 80834C2D
	s_add_u32 s12, s78, s12                                    // 000000006CEC: 800C0C4E
	s_addc_u32 s13, 0, s13                                     // 000000006CF0: 820D0D80
	v_mfma_i32_16x16x32_i8 v[252:255], a[204:205], v[176:177], v[252:255]// 000000006CF4: D3D700FC 0FF361CC
	v_mfma_i32_16x16x32_i8 v[252:255], a[206:207], v[178:179], v[252:255]// 000000006CFC: D3D700FC 0FF365CE
	s_waitcnt vmcnt(45)                                        // 000000006D04: BF8C8F7D
	v_mfma_i32_16x16x32_i8 v[224:227], a[208:209], v[148:149], v[224:227]// 000000006D08: D3D700E0 0F8329D0
	v_mfma_i32_16x16x32_i8 v[224:227], a[210:211], v[150:151], v[224:227]// 000000006D10: D3D700E0 0F832DD2
	buffer_load_dwordx4 a[80:83], v42, s[12:15], 0 offen       // 000000006D18: E05C1000 8083502A
	v_mfma_i32_16x16x32_i8 v[228:231], a[208:209], v[180:181], v[228:231]// 000000006D20: D3D700E4 0F9369D0
	v_mfma_i32_16x16x32_i8 v[228:231], a[210:211], v[182:183], v[228:231]// 000000006D28: D3D700E4 0F936DD2
	v_mfma_i32_16x16x32_i8 v[232:235], a[212:213], v[148:149], v[232:235]// 000000006D30: D3D700E8 0FA329D4
	v_mfma_i32_16x16x32_i8 v[232:235], a[214:215], v[150:151], v[232:235]// 000000006D38: D3D700E8 0FA32DD6
	buffer_load_dwordx4 a[84:87], v43, s[12:15], 0 offen       // 000000006D40: E05C1000 8083542B
	v_mfma_i32_16x16x32_i8 v[236:239], a[212:213], v[180:181], v[236:239]// 000000006D48: D3D700EC 0FB369D4
	v_mfma_i32_16x16x32_i8 v[236:239], a[214:215], v[182:183], v[236:239]// 000000006D50: D3D700EC 0FB36DD6
	v_mfma_i32_16x16x32_i8 v[240:243], a[216:217], v[148:149], v[240:243]// 000000006D58: D3D700F0 0FC329D8
	v_mfma_i32_16x16x32_i8 v[240:243], a[218:219], v[150:151], v[240:243]// 000000006D60: D3D700F0 0FC32DDA
	buffer_load_dwordx4 a[88:91], v44, s[12:15], 0 offen       // 000000006D68: E05C1000 8083582C
	v_mfma_i32_16x16x32_i8 v[244:247], a[216:217], v[180:181], v[244:247]// 000000006D70: D3D700F4 0FD369D8
	v_mfma_i32_16x16x32_i8 v[244:247], a[218:219], v[182:183], v[244:247]// 000000006D78: D3D700F4 0FD36DDA
	v_mfma_i32_16x16x32_i8 v[248:251], a[220:221], v[148:149], v[248:251]// 000000006D80: D3D700F8 0FE329DC
	v_mfma_i32_16x16x32_i8 v[248:251], a[222:223], v[150:151], v[248:251]// 000000006D88: D3D700F8 0FE32DDE
	buffer_load_dwordx4 a[92:95], v45, s[12:15], 0 offen       // 000000006D90: E05C1000 80835C2D
	s_add_u32 s12, s78, s12                                    // 000000006D98: 800C0C4E
	s_addc_u32 s13, 0, s13                                     // 000000006D9C: 820D0D80
	v_mfma_i32_16x16x32_i8 v[252:255], a[220:221], v[180:181], v[252:255]// 000000006DA0: D3D700FC 0FF369DC
	v_mfma_i32_16x16x32_i8 v[252:255], a[222:223], v[182:183], v[252:255]// 000000006DA8: D3D700FC 0FF36DDE
	s_waitcnt vmcnt(45)                                        // 000000006DB0: BF8C8F7D
	v_mfma_i32_16x16x32_i8 v[224:227], a[224:225], v[152:153], v[224:227]// 000000006DB4: D3D700E0 0F8331E0
	v_mfma_i32_16x16x32_i8 v[224:227], a[226:227], v[154:155], v[224:227]// 000000006DBC: D3D700E0 0F8335E2
	buffer_load_dwordx4 a[96:99], v42, s[12:15], 0 offen       // 000000006DC4: E05C1000 8083602A
	v_mfma_i32_16x16x32_i8 v[228:231], a[224:225], v[184:185], v[228:231]// 000000006DCC: D3D700E4 0F9371E0
	v_mfma_i32_16x16x32_i8 v[228:231], a[226:227], v[186:187], v[228:231]// 000000006DD4: D3D700E4 0F9375E2
	v_mfma_i32_16x16x32_i8 v[232:235], a[228:229], v[152:153], v[232:235]// 000000006DDC: D3D700E8 0FA331E4
	v_mfma_i32_16x16x32_i8 v[232:235], a[230:231], v[154:155], v[232:235]// 000000006DE4: D3D700E8 0FA335E6
	buffer_load_dwordx4 a[100:103], v43, s[12:15], 0 offen     // 000000006DEC: E05C1000 8083642B
	v_mfma_i32_16x16x32_i8 v[236:239], a[228:229], v[184:185], v[236:239]// 000000006DF4: D3D700EC 0FB371E4
	v_mfma_i32_16x16x32_i8 v[236:239], a[230:231], v[186:187], v[236:239]// 000000006DFC: D3D700EC 0FB375E6
	v_mfma_i32_16x16x32_i8 v[240:243], a[232:233], v[152:153], v[240:243]// 000000006E04: D3D700F0 0FC331E8
	v_mfma_i32_16x16x32_i8 v[240:243], a[234:235], v[154:155], v[240:243]// 000000006E0C: D3D700F0 0FC335EA
	buffer_load_dwordx4 a[104:107], v44, s[12:15], 0 offen     // 000000006E14: E05C1000 8083682C
	v_mfma_i32_16x16x32_i8 v[244:247], a[232:233], v[184:185], v[244:247]// 000000006E1C: D3D700F4 0FD371E8
	v_mfma_i32_16x16x32_i8 v[244:247], a[234:235], v[186:187], v[244:247]// 000000006E24: D3D700F4 0FD375EA
	v_mfma_i32_16x16x32_i8 v[248:251], a[236:237], v[152:153], v[248:251]// 000000006E2C: D3D700F8 0FE331EC
	v_mfma_i32_16x16x32_i8 v[248:251], a[238:239], v[154:155], v[248:251]// 000000006E34: D3D700F8 0FE335EE
	buffer_load_dwordx4 a[108:111], v45, s[12:15], 0 offen     // 000000006E3C: E05C1000 80836C2D
	s_add_u32 s12, s78, s12                                    // 000000006E44: 800C0C4E
	s_addc_u32 s13, 0, s13                                     // 000000006E48: 820D0D80
	v_mfma_i32_16x16x32_i8 v[252:255], a[236:237], v[184:185], v[252:255]// 000000006E4C: D3D700FC 0FF371EC
	v_mfma_i32_16x16x32_i8 v[252:255], a[238:239], v[186:187], v[252:255]// 000000006E54: D3D700FC 0FF375EE
	s_waitcnt vmcnt(44)                                        // 000000006E5C: BF8C8F7C
	v_mfma_i32_16x16x32_i8 v[224:227], a[240:241], v[156:157], v[224:227]// 000000006E60: D3D700E0 0F8339F0
	v_mfma_i32_16x16x32_i8 v[224:227], a[242:243], v[158:159], v[224:227]// 000000006E68: D3D700E0 0F833DF2
	buffer_load_dwordx4 a[112:115], v42, s[12:15], 0 offen     // 000000006E70: E05C1000 8083702A
	v_mfma_i32_16x16x32_i8 v[228:231], a[240:241], v[188:189], v[228:231]// 000000006E78: D3D700E4 0F9379F0
	v_mfma_i32_16x16x32_i8 v[228:231], a[242:243], v[190:191], v[228:231]// 000000006E80: D3D700E4 0F937DF2
	buffer_load_dword v12, v5, s[16:19], 0 offen               // 000000006E88: E0501000 80040C05
	v_mfma_i32_16x16x32_i8 v[232:235], a[244:245], v[156:157], v[232:235]// 000000006E90: D3D700E8 0FA339F4
	v_mfma_i32_16x16x32_i8 v[232:235], a[246:247], v[158:159], v[232:235]// 000000006E98: D3D700E8 0FA33DF6
	buffer_load_dwordx4 a[116:119], v43, s[12:15], 0 offen     // 000000006EA0: E05C1000 8083742B
	v_mfma_i32_16x16x32_i8 v[236:239], a[244:245], v[188:189], v[236:239]// 000000006EA8: D3D700EC 0FB379F4
	v_mfma_i32_16x16x32_i8 v[236:239], a[246:247], v[190:191], v[236:239]// 000000006EB0: D3D700EC 0FB37DF6
	v_mfma_i32_16x16x32_i8 v[240:243], a[248:249], v[156:157], v[240:243]// 000000006EB8: D3D700F0 0FC339F8
	v_mfma_i32_16x16x32_i8 v[240:243], a[250:251], v[158:159], v[240:243]// 000000006EC0: D3D700F0 0FC33DFA
	buffer_load_dwordx4 a[120:123], v44, s[12:15], 0 offen     // 000000006EC8: E05C1000 8083782C
	v_mfma_i32_16x16x32_i8 v[244:247], a[248:249], v[188:189], v[244:247]// 000000006ED0: D3D700F4 0FD379F8
	v_mfma_i32_16x16x32_i8 v[244:247], a[250:251], v[190:191], v[244:247]// 000000006ED8: D3D700F4 0FD37DFA
	v_mfma_i32_16x16x32_i8 v[248:251], a[252:253], v[156:157], v[248:251]// 000000006EE0: D3D700F8 0FE339FC
	v_mfma_i32_16x16x32_i8 v[248:251], a[254:255], v[158:159], v[248:251]// 000000006EE8: D3D700F8 0FE33DFE
	buffer_load_dwordx4 a[124:127], v45, s[12:15], 0 offen     // 000000006EF0: E05C1000 80837C2D
	v_mfma_i32_16x16x32_i8 v[252:255], a[252:253], v[188:189], v[252:255]// 000000006EF8: D3D700FC 0FF379FC
	v_mfma_i32_16x16x32_i8 v[252:255], a[254:255], v[190:191], v[252:255]// 000000006F00: D3D700FC 0FF37DFE
	s_add_u32 s60, 0x200, s80                                  // 000000006F08: 803C50FF 00000200
	s_cmp_lt_u32 s60, s81                                      // 000000006F10: BF0A513C
	s_cselect_b32 s56, s56, 0                                  // 000000006F14: 85388038
	s_cselect_b32 s78, s78, 0                                  // 000000006F18: 854E804E
	s_cselect_b32 s79, s79, 0                                  // 000000006F1C: 854F804F
	s_add_u32 s12, s56, s12                                    // 000000006F20: 800C0C38
	s_addc_u32 s13, 0, s13                                     // 000000006F24: 820D0D80
	s_add_u32 s16, s79, s16                                    // 000000006F28: 8010104F
	s_addc_u32 s17, 0, s17                                     // 000000006F2C: 82111180
	v_cvt_f32_i32_e32 v224, v224                               // 000000006F30: 7FC00BE0
	v_cvt_f32_i32_e32 v225, v225                               // 000000006F34: 7FC20BE1
	v_cvt_f32_i32_e32 v226, v226                               // 000000006F38: 7FC40BE2
	v_cvt_f32_i32_e32 v227, v227                               // 000000006F3C: 7FC60BE3
	v_mul_f32_e32 v224, v24, v224                              // 000000006F40: 0BC1C118
	v_mul_f32_e32 v225, v24, v225                              // 000000006F44: 0BC3C318
	v_mul_f32_e32 v226, v24, v226                              // 000000006F48: 0BC5C518
	v_mul_f32_e32 v227, v24, v227                              // 000000006F4C: 0BC7C718
	v_mul_f32_dpp v224, v13, v224 row_newbcast:0 row_mask:0xf bank_mask:0xf// 000000006F50: 0BC1C0FA FF01500D
	v_mul_f32_dpp v225, v13, v225 row_newbcast:1 row_mask:0xf bank_mask:0xf// 000000006F58: 0BC3C2FA FF01510D
	v_mul_f32_dpp v226, v13, v226 row_newbcast:2 row_mask:0xf bank_mask:0xf// 000000006F60: 0BC5C4FA FF01520D
	v_mul_f32_dpp v227, v13, v227 row_newbcast:3 row_mask:0xf bank_mask:0xf// 000000006F68: 0BC7C6FA FF01530D
	v_mul_f32_e32 v224, v20, v224                              // 000000006F70: 0BC1C114
	v_mul_f32_e32 v225, v20, v225                              // 000000006F74: 0BC3C314
	v_mul_f32_e32 v226, v20, v226                              // 000000006F78: 0BC5C514
	v_mul_f32_e32 v227, v20, v227                              // 000000006F7C: 0BC7C714
	v_cvt_f32_i32_e32 v228, v228                               // 000000006F80: 7FC80BE4
	v_cvt_f32_i32_e32 v229, v229                               // 000000006F84: 7FCA0BE5
	v_cvt_f32_i32_e32 v230, v230                               // 000000006F88: 7FCC0BE6
	v_cvt_f32_i32_e32 v231, v231                               // 000000006F8C: 7FCE0BE7
	v_mul_f32_e32 v228, v25, v228                              // 000000006F90: 0BC9C919
	v_mul_f32_e32 v229, v25, v229                              // 000000006F94: 0BCBCB19
	v_mul_f32_e32 v230, v25, v230                              // 000000006F98: 0BCDCD19
	v_mul_f32_e32 v231, v25, v231                              // 000000006F9C: 0BCFCF19
	v_mul_f32_dpp v228, v13, v228 row_newbcast:0 row_mask:0xf bank_mask:0xf// 000000006FA0: 0BC9C8FA FF01500D
	v_mul_f32_dpp v229, v13, v229 row_newbcast:1 row_mask:0xf bank_mask:0xf// 000000006FA8: 0BCBCAFA FF01510D
	v_mul_f32_dpp v230, v13, v230 row_newbcast:2 row_mask:0xf bank_mask:0xf// 000000006FB0: 0BCDCCFA FF01520D
	v_mul_f32_dpp v231, v13, v231 row_newbcast:3 row_mask:0xf bank_mask:0xf// 000000006FB8: 0BCFCEFA FF01530D
	v_mul_f32_e32 v228, v21, v228                              // 000000006FC0: 0BC9C915
	v_mul_f32_e32 v229, v21, v229                              // 000000006FC4: 0BCBCB15
	v_mul_f32_e32 v230, v21, v230                              // 000000006FC8: 0BCDCD15
	v_mul_f32_e32 v231, v21, v231                              // 000000006FCC: 0BCFCF15
	v_cvt_f32_i32_e32 v232, v232                               // 000000006FD0: 7FD00BE8
	v_cvt_f32_i32_e32 v233, v233                               // 000000006FD4: 7FD20BE9
	v_cvt_f32_i32_e32 v234, v234                               // 000000006FD8: 7FD40BEA
	v_cvt_f32_i32_e32 v235, v235                               // 000000006FDC: 7FD60BEB
	v_mul_f32_e32 v232, v24, v232                              // 000000006FE0: 0BD1D118
	v_mul_f32_e32 v233, v24, v233                              // 000000006FE4: 0BD3D318
	v_mul_f32_e32 v234, v24, v234                              // 000000006FE8: 0BD5D518
	v_mul_f32_e32 v235, v24, v235                              // 000000006FEC: 0BD7D718
	v_mul_f32_dpp v232, v13, v232 row_newbcast:4 row_mask:0xf bank_mask:0xf// 000000006FF0: 0BD1D0FA FF01540D
	v_mul_f32_dpp v233, v13, v233 row_newbcast:5 row_mask:0xf bank_mask:0xf// 000000006FF8: 0BD3D2FA FF01550D
	v_mul_f32_dpp v234, v13, v234 row_newbcast:6 row_mask:0xf bank_mask:0xf// 000000007000: 0BD5D4FA FF01560D
	v_mul_f32_dpp v235, v13, v235 row_newbcast:7 row_mask:0xf bank_mask:0xf// 000000007008: 0BD7D6FA FF01570D
	v_mul_f32_e32 v232, v20, v232                              // 000000007010: 0BD1D114
	v_mul_f32_e32 v233, v20, v233                              // 000000007014: 0BD3D314
	v_mul_f32_e32 v234, v20, v234                              // 000000007018: 0BD5D514
	v_mul_f32_e32 v235, v20, v235                              // 00000000701C: 0BD7D714
	v_cvt_f32_i32_e32 v236, v236                               // 000000007020: 7FD80BEC
	v_cvt_f32_i32_e32 v237, v237                               // 000000007024: 7FDA0BED
	v_cvt_f32_i32_e32 v238, v238                               // 000000007028: 7FDC0BEE
	v_cvt_f32_i32_e32 v239, v239                               // 00000000702C: 7FDE0BEF
	v_mul_f32_e32 v236, v25, v236                              // 000000007030: 0BD9D919
	v_mul_f32_e32 v237, v25, v237                              // 000000007034: 0BDBDB19
	v_mul_f32_e32 v238, v25, v238                              // 000000007038: 0BDDDD19
	v_mul_f32_e32 v239, v25, v239                              // 00000000703C: 0BDFDF19
	v_mul_f32_dpp v236, v13, v236 row_newbcast:4 row_mask:0xf bank_mask:0xf// 000000007040: 0BD9D8FA FF01540D
	v_mul_f32_dpp v237, v13, v237 row_newbcast:5 row_mask:0xf bank_mask:0xf// 000000007048: 0BDBDAFA FF01550D
	v_mul_f32_dpp v238, v13, v238 row_newbcast:6 row_mask:0xf bank_mask:0xf// 000000007050: 0BDDDCFA FF01560D
	v_mul_f32_dpp v239, v13, v239 row_newbcast:7 row_mask:0xf bank_mask:0xf// 000000007058: 0BDFDEFA FF01570D
	v_mul_f32_e32 v236, v21, v236                              // 000000007060: 0BD9D915
	v_mul_f32_e32 v237, v21, v237                              // 000000007064: 0BDBDB15
	v_mul_f32_e32 v238, v21, v238                              // 000000007068: 0BDDDD15
	v_mul_f32_e32 v239, v21, v239                              // 00000000706C: 0BDFDF15
	v_cvt_f32_i32_e32 v240, v240                               // 000000007070: 7FE00BF0
	v_cvt_f32_i32_e32 v241, v241                               // 000000007074: 7FE20BF1
	v_cvt_f32_i32_e32 v242, v242                               // 000000007078: 7FE40BF2
	v_cvt_f32_i32_e32 v243, v243                               // 00000000707C: 7FE60BF3
	v_mul_f32_e32 v240, v24, v240                              // 000000007080: 0BE1E118
	v_mul_f32_e32 v241, v24, v241                              // 000000007084: 0BE3E318
	v_mul_f32_e32 v242, v24, v242                              // 000000007088: 0BE5E518
	v_mul_f32_e32 v243, v24, v243                              // 00000000708C: 0BE7E718
	v_mul_f32_dpp v240, v13, v240 row_newbcast:8 row_mask:0xf bank_mask:0xf// 000000007090: 0BE1E0FA FF01580D
	v_mul_f32_dpp v241, v13, v241 row_newbcast:9 row_mask:0xf bank_mask:0xf// 000000007098: 0BE3E2FA FF01590D
	v_mul_f32_dpp v242, v13, v242 row_newbcast:10 row_mask:0xf bank_mask:0xf// 0000000070A0: 0BE5E4FA FF015A0D
	v_mul_f32_dpp v243, v13, v243 row_newbcast:11 row_mask:0xf bank_mask:0xf// 0000000070A8: 0BE7E6FA FF015B0D
	v_mul_f32_e32 v240, v20, v240                              // 0000000070B0: 0BE1E114
	v_mul_f32_e32 v241, v20, v241                              // 0000000070B4: 0BE3E314
	v_mul_f32_e32 v242, v20, v242                              // 0000000070B8: 0BE5E514
	v_mul_f32_e32 v243, v20, v243                              // 0000000070BC: 0BE7E714
	v_cvt_f32_i32_e32 v244, v244                               // 0000000070C0: 7FE80BF4
	v_cvt_f32_i32_e32 v245, v245                               // 0000000070C4: 7FEA0BF5
	v_cvt_f32_i32_e32 v246, v246                               // 0000000070C8: 7FEC0BF6
	v_cvt_f32_i32_e32 v247, v247                               // 0000000070CC: 7FEE0BF7
	v_mul_f32_e32 v244, v25, v244                              // 0000000070D0: 0BE9E919
	v_mul_f32_e32 v245, v25, v245                              // 0000000070D4: 0BEBEB19
	v_mul_f32_e32 v246, v25, v246                              // 0000000070D8: 0BEDED19
	v_mul_f32_e32 v247, v25, v247                              // 0000000070DC: 0BEFEF19
	v_mul_f32_dpp v244, v13, v244 row_newbcast:8 row_mask:0xf bank_mask:0xf// 0000000070E0: 0BE9E8FA FF01580D
	v_mul_f32_dpp v245, v13, v245 row_newbcast:9 row_mask:0xf bank_mask:0xf// 0000000070E8: 0BEBEAFA FF01590D
	v_mul_f32_dpp v246, v13, v246 row_newbcast:10 row_mask:0xf bank_mask:0xf// 0000000070F0: 0BEDECFA FF015A0D
	v_mul_f32_dpp v247, v13, v247 row_newbcast:11 row_mask:0xf bank_mask:0xf// 0000000070F8: 0BEFEEFA FF015B0D
	v_mul_f32_e32 v244, v21, v244                              // 000000007100: 0BE9E915
	v_mul_f32_e32 v245, v21, v245                              // 000000007104: 0BEBEB15
	v_mul_f32_e32 v246, v21, v246                              // 000000007108: 0BEDED15
	v_mul_f32_e32 v247, v21, v247                              // 00000000710C: 0BEFEF15
	v_cvt_f32_i32_e32 v248, v248                               // 000000007110: 7FF00BF8
	v_cvt_f32_i32_e32 v249, v249                               // 000000007114: 7FF20BF9
	v_cvt_f32_i32_e32 v250, v250                               // 000000007118: 7FF40BFA
	v_cvt_f32_i32_e32 v251, v251                               // 00000000711C: 7FF60BFB
	v_mul_f32_e32 v248, v24, v248                              // 000000007120: 0BF1F118
	v_mul_f32_e32 v249, v24, v249                              // 000000007124: 0BF3F318
	v_mul_f32_e32 v250, v24, v250                              // 000000007128: 0BF5F518
	v_mul_f32_e32 v251, v24, v251                              // 00000000712C: 0BF7F718
	v_mul_f32_dpp v248, v13, v248 row_newbcast:12 row_mask:0xf bank_mask:0xf// 000000007130: 0BF1F0FA FF015C0D
	v_mul_f32_dpp v249, v13, v249 row_newbcast:13 row_mask:0xf bank_mask:0xf// 000000007138: 0BF3F2FA FF015D0D
	v_mul_f32_dpp v250, v13, v250 row_newbcast:14 row_mask:0xf bank_mask:0xf// 000000007140: 0BF5F4FA FF015E0D
	v_mul_f32_dpp v251, v13, v251 row_newbcast:15 row_mask:0xf bank_mask:0xf// 000000007148: 0BF7F6FA FF015F0D
	v_mul_f32_e32 v248, v20, v248                              // 000000007150: 0BF1F114
	v_mul_f32_e32 v249, v20, v249                              // 000000007154: 0BF3F314
	v_mul_f32_e32 v250, v20, v250                              // 000000007158: 0BF5F514
	v_mul_f32_e32 v251, v20, v251                              // 00000000715C: 0BF7F714
	v_cvt_f32_i32_e32 v252, v252                               // 000000007160: 7FF80BFC
	v_cvt_f32_i32_e32 v253, v253                               // 000000007164: 7FFA0BFD
	v_cvt_f32_i32_e32 v254, v254                               // 000000007168: 7FFC0BFE
	v_cvt_f32_i32_e32 v255, v255                               // 00000000716C: 7FFE0BFF
	v_mul_f32_e32 v252, v25, v252                              // 000000007170: 0BF9F919
	v_mul_f32_e32 v253, v25, v253                              // 000000007174: 0BFBFB19
	v_mul_f32_e32 v254, v25, v254                              // 000000007178: 0BFDFD19
	v_mul_f32_e32 v255, v25, v255                              // 00000000717C: 0BFFFF19
	v_mul_f32_dpp v252, v13, v252 row_newbcast:12 row_mask:0xf bank_mask:0xf// 000000007180: 0BF9F8FA FF015C0D
	v_mul_f32_dpp v253, v13, v253 row_newbcast:13 row_mask:0xf bank_mask:0xf// 000000007188: 0BFBFAFA FF015D0D
	v_mul_f32_dpp v254, v13, v254 row_newbcast:14 row_mask:0xf bank_mask:0xf// 000000007190: 0BFDFCFA FF015E0D
	v_mul_f32_dpp v255, v13, v255 row_newbcast:15 row_mask:0xf bank_mask:0xf// 000000007198: 0BFFFEFA FF015F0D
	v_mul_f32_e32 v252, v21, v252                              // 0000000071A0: 0BF9F915
	v_mul_f32_e32 v253, v21, v253                              // 0000000071A4: 0BFBFB15
	v_mul_f32_e32 v254, v21, v254                              // 0000000071A8: 0BFDFD15
	v_mul_f32_e32 v255, v21, v255                              // 0000000071AC: 0BFFFF15
	v_cvt_pkrtz_f16_f32 v224, v224, v225                       // 0000000071B0: D29600E0 0003C3E0
	v_cvt_pkrtz_f16_f32 v225, v226, v227                       // 0000000071B8: D29600E1 0003C7E2
	v_cvt_pkrtz_f16_f32 v226, v228, v229                       // 0000000071C0: D29600E2 0003CBE4
	v_cvt_pkrtz_f16_f32 v227, v230, v231                       // 0000000071C8: D29600E3 0003CFE6
	v_cvt_pkrtz_f16_f32 v228, v232, v233                       // 0000000071D0: D29600E4 0003D3E8
	v_cvt_pkrtz_f16_f32 v229, v234, v235                       // 0000000071D8: D29600E5 0003D7EA
	v_cvt_pkrtz_f16_f32 v230, v236, v237                       // 0000000071E0: D29600E6 0003DBEC
	v_cvt_pkrtz_f16_f32 v231, v238, v239                       // 0000000071E8: D29600E7 0003DFEE
	v_cvt_pkrtz_f16_f32 v232, v240, v241                       // 0000000071F0: D29600E8 0003E3F0
	v_cvt_pkrtz_f16_f32 v233, v242, v243                       // 0000000071F8: D29600E9 0003E7F2
	v_cvt_pkrtz_f16_f32 v234, v244, v245                       // 000000007200: D29600EA 0003EBF4
	v_cvt_pkrtz_f16_f32 v235, v246, v247                       // 000000007208: D29600EB 0003EFF6
	v_cvt_pkrtz_f16_f32 v236, v248, v249                       // 000000007210: D29600EC 0003F3F8
	v_cvt_pkrtz_f16_f32 v237, v250, v251                       // 000000007218: D29600ED 0003F7FA
	v_cvt_pkrtz_f16_f32 v238, v252, v253                       // 000000007220: D29600EE 0003FBFC
	v_cvt_pkrtz_f16_f32 v239, v254, v255                       // 000000007228: D29600EF 0003FFFE
	ds_write_b64 v3, v[224:225] offset:35072                   // 000000007230: D89A8900 0000E003
	ds_write_b64 v3, v[226:227] offset:43776                   // 000000007238: D89AAB00 0000E203
	ds_write_b64 v3, v[228:229] offset:37248                   // 000000007240: D89A9180 0000E403
	ds_write_b64 v3, v[230:231] offset:45952                   // 000000007248: D89AB380 0000E603
	ds_write_b64 v3, v[232:233] offset:39424                   // 000000007250: D89A9A00 0000E803
	ds_write_b64 v3, v[234:235] offset:48128                   // 000000007258: D89ABC00 0000EA03
	ds_write_b64 v3, v[236:237] offset:41600                   // 000000007260: D89AA280 0000EC03
	ds_write_b64 v3, v[238:239] offset:50304                   // 000000007268: D89AC480 0000EE03
	s_waitcnt lgkmcnt(0)                                       // 000000007270: BF8CC07F
	s_barrier                                                  // 000000007274: BF8A0000
	ds_read_b32 v64, v4 offset:35072                           // 000000007278: D86C8900 40000004
	ds_read_b32 v65, v4 offset:39424                           // 000000007280: D86C9A00 41000004
	ds_read_b32 v66, v4 offset:35104                           // 000000007288: D86C8920 42000004
	ds_read_b32 v67, v4 offset:39456                           // 000000007290: D86C9A20 43000004
	ds_read_b32 v68, v4 offset:35136                           // 000000007298: D86C8940 44000004
	ds_read_b32 v69, v4 offset:39488                           // 0000000072A0: D86C9A40 45000004
	ds_read_b32 v70, v4 offset:35168                           // 0000000072A8: D86C8960 46000004
	ds_read_b32 v71, v4 offset:39520                           // 0000000072B0: D86C9A60 47000004
	ds_read_b32 v72, v4 offset:43776                           // 0000000072B8: D86CAB00 48000004
	ds_read_b32 v73, v4 offset:48128                           // 0000000072C0: D86CBC00 49000004
	ds_read_b32 v74, v4 offset:43808                           // 0000000072C8: D86CAB20 4A000004
	ds_read_b32 v75, v4 offset:48160                           // 0000000072D0: D86CBC20 4B000004
	ds_read_b32 v76, v4 offset:43840                           // 0000000072D8: D86CAB40 4C000004
	ds_read_b32 v77, v4 offset:48192                           // 0000000072E0: D86CBC40 4D000004
	ds_read_b32 v78, v4 offset:43872                           // 0000000072E8: D86CAB60 4E000004
	ds_read_b32 v79, v4 offset:48224                           // 0000000072F0: D86CBC60 4F000004
	s_waitcnt lgkmcnt(0)                                       // 0000000072F8: BF8CC07F
	s_mov_b64 exec, s[20:21]                                   // 0000000072FC: BEFE0114
	global_atomic_pk_add_f16 v80, v64, s[8:9]                  // 000000007300: DD388000 00084050
	s_mov_b64 exec, s[36:37]                                   // 000000007308: BEFE0124
	s_mov_b64 exec, s[20:21]                                   // 00000000730C: BEFE0114
	global_atomic_pk_add_f16 v80, v65, s[8:9] offset:256       // 000000007310: DD388100 00084150
	s_mov_b64 exec, s[36:37]                                   // 000000007318: BEFE0124
	s_mov_b64 exec, s[22:23]                                   // 00000000731C: BEFE0116
	global_atomic_pk_add_f16 v82, v66, s[8:9]                  // 000000007320: DD388000 00084252
	s_mov_b64 exec, s[36:37]                                   // 000000007328: BEFE0124
	s_mov_b64 exec, s[22:23]                                   // 00000000732C: BEFE0116
	global_atomic_pk_add_f16 v82, v67, s[8:9] offset:256       // 000000007330: DD388100 00084352
	s_mov_b64 exec, s[36:37]                                   // 000000007338: BEFE0124
	s_mov_b64 exec, s[24:25]                                   // 00000000733C: BEFE0118
	global_atomic_pk_add_f16 v84, v68, s[8:9]                  // 000000007340: DD388000 00084454
	s_mov_b64 exec, s[36:37]                                   // 000000007348: BEFE0124
	s_mov_b64 exec, s[24:25]                                   // 00000000734C: BEFE0118
	global_atomic_pk_add_f16 v84, v69, s[8:9] offset:256       // 000000007350: DD388100 00084554
	s_mov_b64 exec, s[36:37]                                   // 000000007358: BEFE0124
	s_mov_b64 exec, s[26:27]                                   // 00000000735C: BEFE011A
	global_atomic_pk_add_f16 v86, v70, s[8:9]                  // 000000007360: DD388000 00084656
	s_mov_b64 exec, s[36:37]                                   // 000000007368: BEFE0124
	s_mov_b64 exec, s[26:27]                                   // 00000000736C: BEFE011A
	global_atomic_pk_add_f16 v86, v71, s[8:9] offset:256       // 000000007370: DD388100 00084756
	s_mov_b64 exec, s[36:37]                                   // 000000007378: BEFE0124
	s_mov_b64 exec, s[28:29]                                   // 00000000737C: BEFE011C
	global_atomic_pk_add_f16 v88, v72, s[8:9]                  // 000000007380: DD388000 00084858
	s_mov_b64 exec, s[36:37]                                   // 000000007388: BEFE0124
	s_mov_b64 exec, s[28:29]                                   // 00000000738C: BEFE011C
	global_atomic_pk_add_f16 v88, v73, s[8:9] offset:256       // 000000007390: DD388100 00084958
	s_mov_b64 exec, s[36:37]                                   // 000000007398: BEFE0124
	s_mov_b64 exec, s[30:31]                                   // 00000000739C: BEFE011E
	global_atomic_pk_add_f16 v90, v74, s[8:9]                  // 0000000073A0: DD388000 00084A5A
	s_mov_b64 exec, s[36:37]                                   // 0000000073A8: BEFE0124
	s_mov_b64 exec, s[30:31]                                   // 0000000073AC: BEFE011E
	global_atomic_pk_add_f16 v90, v75, s[8:9] offset:256       // 0000000073B0: DD388100 00084B5A
	s_mov_b64 exec, s[36:37]                                   // 0000000073B8: BEFE0124
	s_mov_b64 exec, s[32:33]                                   // 0000000073BC: BEFE0120
	global_atomic_pk_add_f16 v92, v76, s[8:9]                  // 0000000073C0: DD388000 00084C5C
	s_mov_b64 exec, s[36:37]                                   // 0000000073C8: BEFE0124
	s_mov_b64 exec, s[32:33]                                   // 0000000073CC: BEFE0120
	global_atomic_pk_add_f16 v92, v77, s[8:9] offset:256       // 0000000073D0: DD388100 00084D5C
	s_mov_b64 exec, s[36:37]                                   // 0000000073D8: BEFE0124
	s_mov_b64 exec, s[34:35]                                   // 0000000073DC: BEFE0122
	global_atomic_pk_add_f16 v94, v78, s[8:9]                  // 0000000073E0: DD388000 00084E5E
	s_mov_b64 exec, s[36:37]                                   // 0000000073E8: BEFE0124
	s_mov_b64 exec, s[34:35]                                   // 0000000073EC: BEFE0122
	global_atomic_pk_add_f16 v94, v79, s[8:9] offset:256       // 0000000073F0: DD388100 00084F5E
	s_mov_b64 exec, s[36:37]                                   // 0000000073F8: BEFE0124
	s_add_u32 s8, s59, s8                                      // 0000000073FC: 8008083B
	s_addc_u32 s9, 0, s9                                       // 000000007400: 82090980
	s_addk_i32 s80, 0x100                                      // 000000007404: B7500100
	s_cmp_lt_i32 s80, s81                                      // 000000007408: BF045150
	s_cbranch_scc0 label_1185                                  // 00000000740C: BF840001
	s_branch label_0C4E                                        // 000000007410: BF82FAC9

0000000000007414 <label_1185>:
	s_nop 0                                                    // 000000007414: BF800000
	s_nop 0                                                    // 000000007418: BF800000
	s_branch label_2069                                        // 00000000741C: BF820EE1

0000000000007420 <label_1188>:
	s_waitcnt vmcnt(24) lgkmcnt(0)                             // 000000007420: BF8C4078
	s_barrier                                                  // 000000007424: BF8A0000
	v_mfma_i32_16x16x32_i8 v[128:131], a[0:1], v[192:193], v[128:131]// 000000007428: D3D70080 0E038100
	buffer_load_dwordx4 a[128:131], v34, s[24:27], 0 offen     // 000000007430: E05C1000 80868022
	v_mfma_i32_16x16x32_i8 v[128:131], a[2:3], v[194:195], v[128:131]// 000000007438: D3D70080 0E038502
	v_mfma_i32_16x16x32_i8 v[128:131], a[4:5], v[196:197], v[128:131]// 000000007440: D3D70080 0E038904
	buffer_load_dword v26, s[20:23], 0 offen lds               // 000000007448: E0511000 8005001A
	s_add_u32 m0, 0x100, s50                                   // 000000007450: 807C32FF 00000100
	v_mfma_i32_16x16x32_i8 v[128:131], a[6:7], v[198:199], v[128:131]// 000000007458: D3D70080 0E038D06
	v_mfma_i32_16x16x32_i8 v[128:131], a[8:9], v[200:201], v[128:131]// 000000007460: D3D70080 0E039108
	buffer_load_dwordx4 a[132:135], v34, s[24:27], 0 offen offset:1024// 000000007468: E05C1400 80868422
	v_mfma_i32_16x16x32_i8 v[128:131], a[10:11], v[202:203], v[128:131]// 000000007470: D3D70080 0E03950A
	v_mfma_i32_16x16x32_i8 v[128:131], a[12:13], v[204:205], v[128:131]// 000000007478: D3D70080 0E03990C
	buffer_load_dword v27, s[20:23], 0 offen lds               // 000000007480: E0511000 8005001B
	s_add_u32 m0, 0x200, s50                                   // 000000007488: 807C32FF 00000200
	v_mfma_i32_16x16x32_i8 v[128:131], a[14:15], v[206:207], v[128:131]// 000000007490: D3D70080 0E039D0E
	v_mfma_i32_16x16x32_i8 v[132:135], a[0:1], v[208:209], v[132:135]// 000000007498: D3D70084 0E13A100
	buffer_load_dwordx4 a[136:139], v34, s[24:27], 0 offen offset:2048// 0000000074A0: E05C1800 80868822
	v_mfma_i32_16x16x32_i8 v[132:135], a[2:3], v[210:211], v[132:135]// 0000000074A8: D3D70084 0E13A502
	v_mfma_i32_16x16x32_i8 v[132:135], a[4:5], v[212:213], v[132:135]// 0000000074B0: D3D70084 0E13A904
	buffer_load_dword v28, s[20:23], 0 offen lds               // 0000000074B8: E0511000 8005001C
	s_add_u32 m0, 0x300, s50                                   // 0000000074C0: 807C32FF 00000300
	v_mfma_i32_16x16x32_i8 v[132:135], a[6:7], v[214:215], v[132:135]// 0000000074C8: D3D70084 0E13AD06
	v_mfma_i32_16x16x32_i8 v[132:135], a[8:9], v[216:217], v[132:135]// 0000000074D0: D3D70084 0E13B108
	buffer_load_dwordx4 a[140:143], v34, s[24:27], 0 offen offset:3072// 0000000074D8: E05C1C00 80868C22
	v_mfma_i32_16x16x32_i8 v[132:135], a[10:11], v[218:219], v[132:135]// 0000000074E0: D3D70084 0E13B50A
	v_mfma_i32_16x16x32_i8 v[132:135], a[12:13], v[220:221], v[132:135]// 0000000074E8: D3D70084 0E13B90C
	buffer_load_dword v29, s[20:23], 0 offen lds               // 0000000074F0: E0511000 8005001D
	s_add_u32 m0, 0x400, s50                                   // 0000000074F8: 807C32FF 00000400
	v_mfma_i32_16x16x32_i8 v[132:135], a[14:15], v[222:223], v[132:135]// 000000007500: D3D70084 0E13BD0E
	v_mfma_i32_16x16x32_i8 v[136:139], a[16:17], v[192:193], v[136:139]// 000000007508: D3D70088 0E238110
	buffer_load_dwordx4 a[144:147], v35, s[24:27], 0 offen     // 000000007510: E05C1000 80869023
	v_mfma_i32_16x16x32_i8 v[136:139], a[18:19], v[194:195], v[136:139]// 000000007518: D3D70088 0E238512
	v_mfma_i32_16x16x32_i8 v[136:139], a[20:21], v[196:197], v[136:139]// 000000007520: D3D70088 0E238914
	buffer_load_dword v30, s[20:23], 0 offen lds               // 000000007528: E0511000 8005001E
	s_add_u32 m0, 0x500, s50                                   // 000000007530: 807C32FF 00000500
	v_mfma_i32_16x16x32_i8 v[136:139], a[22:23], v[198:199], v[136:139]// 000000007538: D3D70088 0E238D16
	v_mfma_i32_16x16x32_i8 v[136:139], a[24:25], v[200:201], v[136:139]// 000000007540: D3D70088 0E239118
	buffer_load_dwordx4 a[148:151], v35, s[24:27], 0 offen offset:1024// 000000007548: E05C1400 80869423
	v_mfma_i32_16x16x32_i8 v[136:139], a[26:27], v[202:203], v[136:139]// 000000007550: D3D70088 0E23951A
	v_mfma_i32_16x16x32_i8 v[136:139], a[28:29], v[204:205], v[136:139]// 000000007558: D3D70088 0E23991C
	buffer_load_dword v31, s[20:23], 0 offen lds               // 000000007560: E0511000 8005001F
	s_add_u32 m0, 0x600, s50                                   // 000000007568: 807C32FF 00000600
	v_mfma_i32_16x16x32_i8 v[136:139], a[30:31], v[206:207], v[136:139]// 000000007570: D3D70088 0E239D1E
	v_mfma_i32_16x16x32_i8 v[140:143], a[16:17], v[208:209], v[140:143]// 000000007578: D3D7008C 0E33A110
	buffer_load_dwordx4 a[152:155], v35, s[24:27], 0 offen offset:2048// 000000007580: E05C1800 80869823
	v_mfma_i32_16x16x32_i8 v[140:143], a[18:19], v[210:211], v[140:143]// 000000007588: D3D7008C 0E33A512
	v_mfma_i32_16x16x32_i8 v[140:143], a[20:21], v[212:213], v[140:143]// 000000007590: D3D7008C 0E33A914
	buffer_load_dword v32, s[20:23], 0 offen lds               // 000000007598: E0511000 80050020
	s_add_u32 m0, 0x700, s50                                   // 0000000075A0: 807C32FF 00000700
	v_mfma_i32_16x16x32_i8 v[140:143], a[22:23], v[214:215], v[140:143]// 0000000075A8: D3D7008C 0E33AD16
	v_mfma_i32_16x16x32_i8 v[140:143], a[24:25], v[216:217], v[140:143]// 0000000075B0: D3D7008C 0E33B118
	buffer_load_dwordx4 a[156:159], v35, s[24:27], 0 offen offset:3072// 0000000075B8: E05C1C00 80869C23
	v_mfma_i32_16x16x32_i8 v[140:143], a[26:27], v[218:219], v[140:143]// 0000000075C0: D3D7008C 0E33B51A
	v_mfma_i32_16x16x32_i8 v[140:143], a[28:29], v[220:221], v[140:143]// 0000000075C8: D3D7008C 0E33B91C
	buffer_load_dword v33, s[20:23], 0 offen lds               // 0000000075D0: E0511000 80050021
	s_add_u32 m0, 0, s51                                       // 0000000075D8: 807C3380
	v_mfma_i32_16x16x32_i8 v[140:143], a[30:31], v[222:223], v[140:143]// 0000000075DC: D3D7008C 0E33BD1E
	s_waitcnt vmcnt(36)                                        // 0000000075E4: BF8C8F74
	v_mfma_i32_16x16x32_i8 v[144:147], a[32:33], v[192:193], v[144:147]// 0000000075E8: D3D70090 0E438120
	buffer_load_dwordx4 a[160:163], v36, s[24:27], 0 offen     // 0000000075F0: E05C1000 8086A024
	v_mfma_i32_16x16x32_i8 v[144:147], a[34:35], v[194:195], v[144:147]// 0000000075F8: D3D70090 0E438522
	v_mfma_i32_16x16x32_i8 v[144:147], a[36:37], v[196:197], v[144:147]// 000000007600: D3D70090 0E438924
	ds_read_b128 v[224:227], v2 offset:8320                    // 000000007608: D9FE2080 E0000002
	v_mfma_i32_16x16x32_i8 v[144:147], a[38:39], v[198:199], v[144:147]// 000000007610: D3D70090 0E438D26
	v_mfma_i32_16x16x32_i8 v[144:147], a[40:41], v[200:201], v[144:147]// 000000007618: D3D70090 0E439128
	buffer_load_dwordx4 a[164:167], v36, s[24:27], 0 offen offset:1024// 000000007620: E05C1400 8086A424
	v_mfma_i32_16x16x32_i8 v[144:147], a[42:43], v[202:203], v[144:147]// 000000007628: D3D70090 0E43952A
	v_mfma_i32_16x16x32_i8 v[144:147], a[44:45], v[204:205], v[144:147]// 000000007630: D3D70090 0E43992C
	ds_read_b128 v[228:231], v2 offset:8384                    // 000000007638: D9FE20C0 E4000002
	v_mfma_i32_16x16x32_i8 v[144:147], a[46:47], v[206:207], v[144:147]// 000000007640: D3D70090 0E439D2E
	v_mfma_i32_16x16x32_i8 v[148:151], a[32:33], v[208:209], v[148:151]// 000000007648: D3D70094 0E53A120
	buffer_load_dwordx4 a[168:171], v36, s[24:27], 0 offen offset:2048// 000000007650: E05C1800 8086A824
	v_mfma_i32_16x16x32_i8 v[148:151], a[34:35], v[210:211], v[148:151]// 000000007658: D3D70094 0E53A522
	v_mfma_i32_16x16x32_i8 v[148:151], a[36:37], v[212:213], v[148:151]// 000000007660: D3D70094 0E53A924
	ds_read_b128 v[232:235], v2 offset:8448                    // 000000007668: D9FE2100 E8000002
	v_mfma_i32_16x16x32_i8 v[148:151], a[38:39], v[214:215], v[148:151]// 000000007670: D3D70094 0E53AD26
	v_mfma_i32_16x16x32_i8 v[148:151], a[40:41], v[216:217], v[148:151]// 000000007678: D3D70094 0E53B128
	buffer_load_dwordx4 a[172:175], v36, s[24:27], 0 offen offset:3072// 000000007680: E05C1C00 8086AC24
	v_mfma_i32_16x16x32_i8 v[148:151], a[42:43], v[218:219], v[148:151]// 000000007688: D3D70094 0E53B52A
	v_mfma_i32_16x16x32_i8 v[148:151], a[44:45], v[220:221], v[148:151]// 000000007690: D3D70094 0E53B92C
	ds_read_b128 v[236:239], v2 offset:8512                    // 000000007698: D9FE2140 EC000002
	v_mfma_i32_16x16x32_i8 v[148:151], a[46:47], v[222:223], v[148:151]// 0000000076A0: D3D70094 0E53BD2E
	s_waitcnt vmcnt(36)                                        // 0000000076A8: BF8C8F74
	v_mfma_i32_16x16x32_i8 v[152:155], a[48:49], v[192:193], v[152:155]// 0000000076AC: D3D70098 0E638130
	buffer_load_dwordx4 a[176:179], v37, s[24:27], 0 offen     // 0000000076B4: E05C1000 8086B025
	v_mfma_i32_16x16x32_i8 v[152:155], a[50:51], v[194:195], v[152:155]// 0000000076BC: D3D70098 0E638532
	v_mfma_i32_16x16x32_i8 v[152:155], a[52:53], v[196:197], v[152:155]// 0000000076C4: D3D70098 0E638934
	ds_read_b128 v[240:243], v2 offset:9344                    // 0000000076CC: D9FE2480 F0000002
	v_mfma_i32_16x16x32_i8 v[152:155], a[54:55], v[198:199], v[152:155]// 0000000076D4: D3D70098 0E638D36
	v_mfma_i32_16x16x32_i8 v[152:155], a[56:57], v[200:201], v[152:155]// 0000000076DC: D3D70098 0E639138
	buffer_load_dwordx4 a[180:183], v37, s[24:27], 0 offen offset:1024// 0000000076E4: E05C1400 8086B425
	v_mfma_i32_16x16x32_i8 v[152:155], a[58:59], v[202:203], v[152:155]// 0000000076EC: D3D70098 0E63953A
	v_mfma_i32_16x16x32_i8 v[152:155], a[60:61], v[204:205], v[152:155]// 0000000076F4: D3D70098 0E63993C
	ds_read_b128 v[244:247], v2 offset:9408                    // 0000000076FC: D9FE24C0 F4000002
	v_mfma_i32_16x16x32_i8 v[152:155], a[62:63], v[206:207], v[152:155]// 000000007704: D3D70098 0E639D3E
	v_mfma_i32_16x16x32_i8 v[156:159], a[48:49], v[208:209], v[156:159]// 00000000770C: D3D7009C 0E73A130
	buffer_load_dwordx4 a[184:187], v37, s[24:27], 0 offen offset:2048// 000000007714: E05C1800 8086B825
	v_mfma_i32_16x16x32_i8 v[156:159], a[50:51], v[210:211], v[156:159]// 00000000771C: D3D7009C 0E73A532
	v_mfma_i32_16x16x32_i8 v[156:159], a[52:53], v[212:213], v[156:159]// 000000007724: D3D7009C 0E73A934
	ds_read_b128 v[248:251], v2 offset:9472                    // 00000000772C: D9FE2500 F8000002
	v_mfma_i32_16x16x32_i8 v[156:159], a[54:55], v[214:215], v[156:159]// 000000007734: D3D7009C 0E73AD36
	v_mfma_i32_16x16x32_i8 v[156:159], a[56:57], v[216:217], v[156:159]// 00000000773C: D3D7009C 0E73B138
	buffer_load_dwordx4 a[188:191], v37, s[24:27], 0 offen offset:3072// 000000007744: E05C1C00 8086BC25
	v_mfma_i32_16x16x32_i8 v[156:159], a[58:59], v[218:219], v[156:159]// 00000000774C: D3D7009C 0E73B53A
	v_mfma_i32_16x16x32_i8 v[156:159], a[60:61], v[220:221], v[156:159]// 000000007754: D3D7009C 0E73B93C
	ds_read_b128 v[252:255], v2 offset:9536                    // 00000000775C: D9FE2540 FC000002
	v_mfma_i32_16x16x32_i8 v[156:159], a[62:63], v[222:223], v[156:159]// 000000007764: D3D7009C 0E73BD3E
	s_waitcnt vmcnt(36)                                        // 00000000776C: BF8C8F74
	v_mfma_i32_16x16x32_i8 v[160:163], a[64:65], v[192:193], v[160:163]// 000000007770: D3D700A0 0E838140
	buffer_load_dwordx4 a[192:195], v38, s[24:27], 0 offen     // 000000007778: E05C1000 8086C026
	v_mfma_i32_16x16x32_i8 v[160:163], a[66:67], v[194:195], v[160:163]// 000000007780: D3D700A0 0E838542
	v_mfma_i32_16x16x32_i8 v[160:163], a[68:69], v[196:197], v[160:163]// 000000007788: D3D700A0 0E838944
	v_mfma_i32_16x16x32_i8 v[160:163], a[70:71], v[198:199], v[160:163]// 000000007790: D3D700A0 0E838D46
	v_mfma_i32_16x16x32_i8 v[160:163], a[72:73], v[200:201], v[160:163]// 000000007798: D3D700A0 0E839148
	buffer_load_dwordx4 a[196:199], v38, s[24:27], 0 offen offset:1024// 0000000077A0: E05C1400 8086C426
	v_mfma_i32_16x16x32_i8 v[160:163], a[74:75], v[202:203], v[160:163]// 0000000077A8: D3D700A0 0E83954A
	v_mfma_i32_16x16x32_i8 v[160:163], a[76:77], v[204:205], v[160:163]// 0000000077B0: D3D700A0 0E83994C
	v_mfma_i32_16x16x32_i8 v[160:163], a[78:79], v[206:207], v[160:163]// 0000000077B8: D3D700A0 0E839D4E
	v_mfma_i32_16x16x32_i8 v[164:167], a[64:65], v[208:209], v[164:167]// 0000000077C0: D3D700A4 0E93A140
	buffer_load_dwordx4 a[200:203], v38, s[24:27], 0 offen offset:2048// 0000000077C8: E05C1800 8086C826
	v_mfma_i32_16x16x32_i8 v[164:167], a[66:67], v[210:211], v[164:167]// 0000000077D0: D3D700A4 0E93A542
	v_mfma_i32_16x16x32_i8 v[164:167], a[68:69], v[212:213], v[164:167]// 0000000077D8: D3D700A4 0E93A944
	v_mfma_i32_16x16x32_i8 v[164:167], a[70:71], v[214:215], v[164:167]// 0000000077E0: D3D700A4 0E93AD46
	v_mfma_i32_16x16x32_i8 v[164:167], a[72:73], v[216:217], v[164:167]// 0000000077E8: D3D700A4 0E93B148
	buffer_load_dwordx4 a[204:207], v38, s[24:27], 0 offen offset:3072// 0000000077F0: E05C1C00 8086CC26
	v_mfma_i32_16x16x32_i8 v[164:167], a[74:75], v[218:219], v[164:167]// 0000000077F8: D3D700A4 0E93B54A
	v_mfma_i32_16x16x32_i8 v[164:167], a[76:77], v[220:221], v[164:167]// 000000007800: D3D700A4 0E93B94C
	v_mfma_i32_16x16x32_i8 v[164:167], a[78:79], v[222:223], v[164:167]// 000000007808: D3D700A4 0E93BD4E
	s_waitcnt vmcnt(36)                                        // 000000007810: BF8C8F74
	v_mfma_i32_16x16x32_i8 v[168:171], a[80:81], v[192:193], v[168:171]// 000000007814: D3D700A8 0EA38150
	buffer_load_dwordx4 a[208:211], v39, s[24:27], 0 offen     // 00000000781C: E05C1000 8086D027
	v_mfma_i32_16x16x32_i8 v[168:171], a[82:83], v[194:195], v[168:171]// 000000007824: D3D700A8 0EA38552
	v_mfma_i32_16x16x32_i8 v[168:171], a[84:85], v[196:197], v[168:171]// 00000000782C: D3D700A8 0EA38954
	v_mfma_i32_16x16x32_i8 v[168:171], a[86:87], v[198:199], v[168:171]// 000000007834: D3D700A8 0EA38D56
	v_mfma_i32_16x16x32_i8 v[168:171], a[88:89], v[200:201], v[168:171]// 00000000783C: D3D700A8 0EA39158
	buffer_load_dwordx4 a[212:215], v39, s[24:27], 0 offen offset:1024// 000000007844: E05C1400 8086D427
	v_mfma_i32_16x16x32_i8 v[168:171], a[90:91], v[202:203], v[168:171]// 00000000784C: D3D700A8 0EA3955A
	v_mfma_i32_16x16x32_i8 v[168:171], a[92:93], v[204:205], v[168:171]// 000000007854: D3D700A8 0EA3995C
	v_mfma_i32_16x16x32_i8 v[168:171], a[94:95], v[206:207], v[168:171]// 00000000785C: D3D700A8 0EA39D5E
	v_mfma_i32_16x16x32_i8 v[172:175], a[80:81], v[208:209], v[172:175]// 000000007864: D3D700AC 0EB3A150
	buffer_load_dwordx4 a[216:219], v39, s[24:27], 0 offen offset:2048// 00000000786C: E05C1800 8086D827
	v_mfma_i32_16x16x32_i8 v[172:175], a[82:83], v[210:211], v[172:175]// 000000007874: D3D700AC 0EB3A552
	v_mfma_i32_16x16x32_i8 v[172:175], a[84:85], v[212:213], v[172:175]// 00000000787C: D3D700AC 0EB3A954
	v_mfma_i32_16x16x32_i8 v[172:175], a[86:87], v[214:215], v[172:175]// 000000007884: D3D700AC 0EB3AD56
	v_mfma_i32_16x16x32_i8 v[172:175], a[88:89], v[216:217], v[172:175]// 00000000788C: D3D700AC 0EB3B158
	buffer_load_dwordx4 a[220:223], v39, s[24:27], 0 offen offset:3072// 000000007894: E05C1C00 8086DC27
	v_mfma_i32_16x16x32_i8 v[172:175], a[90:91], v[218:219], v[172:175]// 00000000789C: D3D700AC 0EB3B55A
	v_mfma_i32_16x16x32_i8 v[172:175], a[92:93], v[220:221], v[172:175]// 0000000078A4: D3D700AC 0EB3B95C
	v_mfma_i32_16x16x32_i8 v[172:175], a[94:95], v[222:223], v[172:175]// 0000000078AC: D3D700AC 0EB3BD5E
	s_waitcnt vmcnt(36)                                        // 0000000078B4: BF8C8F74
	v_mfma_i32_16x16x32_i8 v[176:179], a[96:97], v[192:193], v[176:179]// 0000000078B8: D3D700B0 0EC38160
	buffer_load_dwordx4 a[224:227], v40, s[24:27], 0 offen     // 0000000078C0: E05C1000 8086E028
	v_mfma_i32_16x16x32_i8 v[176:179], a[98:99], v[194:195], v[176:179]// 0000000078C8: D3D700B0 0EC38562
	v_mfma_i32_16x16x32_i8 v[176:179], a[100:101], v[196:197], v[176:179]// 0000000078D0: D3D700B0 0EC38964
	v_mfma_i32_16x16x32_i8 v[176:179], a[102:103], v[198:199], v[176:179]// 0000000078D8: D3D700B0 0EC38D66
	v_mfma_i32_16x16x32_i8 v[176:179], a[104:105], v[200:201], v[176:179]// 0000000078E0: D3D700B0 0EC39168
	buffer_load_dwordx4 a[228:231], v40, s[24:27], 0 offen offset:1024// 0000000078E8: E05C1400 8086E428
	v_mfma_i32_16x16x32_i8 v[176:179], a[106:107], v[202:203], v[176:179]// 0000000078F0: D3D700B0 0EC3956A
	v_mfma_i32_16x16x32_i8 v[176:179], a[108:109], v[204:205], v[176:179]// 0000000078F8: D3D700B0 0EC3996C
	v_mfma_i32_16x16x32_i8 v[176:179], a[110:111], v[206:207], v[176:179]// 000000007900: D3D700B0 0EC39D6E
	v_mfma_i32_16x16x32_i8 v[180:183], a[96:97], v[208:209], v[180:183]// 000000007908: D3D700B4 0ED3A160
	buffer_load_dwordx4 a[232:235], v40, s[24:27], 0 offen offset:2048// 000000007910: E05C1800 8086E828
	v_mfma_i32_16x16x32_i8 v[180:183], a[98:99], v[210:211], v[180:183]// 000000007918: D3D700B4 0ED3A562
	v_mfma_i32_16x16x32_i8 v[180:183], a[100:101], v[212:213], v[180:183]// 000000007920: D3D700B4 0ED3A964
	v_mfma_i32_16x16x32_i8 v[180:183], a[102:103], v[214:215], v[180:183]// 000000007928: D3D700B4 0ED3AD66
	v_mfma_i32_16x16x32_i8 v[180:183], a[104:105], v[216:217], v[180:183]// 000000007930: D3D700B4 0ED3B168
	buffer_load_dwordx4 a[236:239], v40, s[24:27], 0 offen offset:3072// 000000007938: E05C1C00 8086EC28
	v_mfma_i32_16x16x32_i8 v[180:183], a[106:107], v[218:219], v[180:183]// 000000007940: D3D700B4 0ED3B56A
	v_mfma_i32_16x16x32_i8 v[180:183], a[108:109], v[220:221], v[180:183]// 000000007948: D3D700B4 0ED3B96C
	v_mfma_i32_16x16x32_i8 v[180:183], a[110:111], v[222:223], v[180:183]// 000000007950: D3D700B4 0ED3BD6E
	s_waitcnt vmcnt(36)                                        // 000000007958: BF8C8F74
	v_mfma_i32_16x16x32_i8 v[184:187], a[112:113], v[192:193], v[184:187]// 00000000795C: D3D700B8 0EE38170
	buffer_load_dwordx4 a[240:243], v41, s[24:27], 0 offen     // 000000007964: E05C1000 8086F029
	v_mfma_i32_16x16x32_i8 v[184:187], a[114:115], v[194:195], v[184:187]// 00000000796C: D3D700B8 0EE38572
	v_mfma_i32_16x16x32_i8 v[184:187], a[116:117], v[196:197], v[184:187]// 000000007974: D3D700B8 0EE38974
	v_mfma_i32_16x16x32_i8 v[184:187], a[118:119], v[198:199], v[184:187]// 00000000797C: D3D700B8 0EE38D76
	v_mfma_i32_16x16x32_i8 v[184:187], a[120:121], v[200:201], v[184:187]// 000000007984: D3D700B8 0EE39178
	buffer_load_dwordx4 a[244:247], v41, s[24:27], 0 offen offset:1024// 00000000798C: E05C1400 8086F429
	v_mfma_i32_16x16x32_i8 v[184:187], a[122:123], v[202:203], v[184:187]// 000000007994: D3D700B8 0EE3957A
	v_mfma_i32_16x16x32_i8 v[184:187], a[124:125], v[204:205], v[184:187]// 00000000799C: D3D700B8 0EE3997C
	v_mfma_i32_16x16x32_i8 v[184:187], a[126:127], v[206:207], v[184:187]// 0000000079A4: D3D700B8 0EE39D7E
	v_mfma_i32_16x16x32_i8 v[188:191], a[112:113], v[208:209], v[188:191]// 0000000079AC: D3D700BC 0EF3A170
	buffer_load_dwordx4 a[248:251], v41, s[24:27], 0 offen offset:2048// 0000000079B4: E05C1800 8086F829
	v_mfma_i32_16x16x32_i8 v[188:191], a[114:115], v[210:211], v[188:191]// 0000000079BC: D3D700BC 0EF3A572
	v_mfma_i32_16x16x32_i8 v[188:191], a[116:117], v[212:213], v[188:191]// 0000000079C4: D3D700BC 0EF3A974
	v_mfma_i32_16x16x32_i8 v[188:191], a[118:119], v[214:215], v[188:191]// 0000000079CC: D3D700BC 0EF3AD76
	v_mfma_i32_16x16x32_i8 v[188:191], a[120:121], v[216:217], v[188:191]// 0000000079D4: D3D700BC 0EF3B178
	buffer_load_dwordx4 a[252:255], v41, s[24:27], 0 offen offset:3072// 0000000079DC: E05C1C00 8086FC29
	v_mfma_i32_16x16x32_i8 v[188:191], a[122:123], v[218:219], v[188:191]// 0000000079E4: D3D700BC 0EF3B57A
	v_mfma_i32_16x16x32_i8 v[188:191], a[124:125], v[220:221], v[188:191]// 0000000079EC: D3D700BC 0EF3B97C
	v_mfma_i32_16x16x32_i8 v[188:191], a[126:127], v[222:223], v[188:191]// 0000000079F4: D3D700BC 0EF3BD7E
	s_add_u32 s60, 0x300, s80                                  // 0000000079FC: 803C50FF 00000300
	s_cmp_lt_u32 s60, s81                                      // 000000007A04: BF0A513C
	s_cselect_b32 s57, s57, 0                                  // 000000007A08: 85398039
	s_add_u32 s60, 0x200, s80                                  // 000000007A0C: 803C50FF 00000200
	s_cmp_lt_u32 s60, s81                                      // 000000007A14: BF0A513C
	s_cselect_b32 s58, s58, 0                                  // 000000007A18: 853A803A
	s_add_u32 s20, s57, s20                                    // 000000007A1C: 80141439
	s_addc_u32 s21, 0, s21                                     // 000000007A20: 82151580
	s_add_u32 s24, s58, s24                                    // 000000007A24: 8018183A
	s_addc_u32 s25, 0, s25                                     // 000000007A28: 82191980
	s_addk_i32 s80, 0x100                                      // 000000007A2C: B7500100
	s_cmp_lt_i32 s80, s81                                      // 000000007A30: BF045150
	s_cbranch_scc0 label_1495                                  // 000000007A34: BF840187
	s_waitcnt vmcnt(24) lgkmcnt(0)                             // 000000007A38: BF8C4078
	s_barrier                                                  // 000000007A3C: BF8A0000
	v_mfma_i32_16x16x32_i8 v[128:131], a[128:129], v[224:225], v[128:131]// 000000007A40: D3D70080 0E03C180
	buffer_load_dwordx4 a[0:3], v34, s[24:27], 0 offen         // 000000007A48: E05C1000 80860022
	v_mfma_i32_16x16x32_i8 v[128:131], a[130:131], v[226:227], v[128:131]// 000000007A50: D3D70080 0E03C582
	v_mfma_i32_16x16x32_i8 v[128:131], a[132:133], v[228:229], v[128:131]// 000000007A58: D3D70080 0E03C984
	buffer_load_dword v26, s[20:23], 0 offen lds               // 000000007A60: E0511000 8005001A
	s_add_u32 m0, 0x100, s51                                   // 000000007A68: 807C33FF 00000100
	v_mfma_i32_16x16x32_i8 v[128:131], a[134:135], v[230:231], v[128:131]// 000000007A70: D3D70080 0E03CD86
	v_mfma_i32_16x16x32_i8 v[128:131], a[136:137], v[232:233], v[128:131]// 000000007A78: D3D70080 0E03D188
	buffer_load_dwordx4 a[4:7], v34, s[24:27], 0 offen offset:1024// 000000007A80: E05C1400 80860422
	v_mfma_i32_16x16x32_i8 v[128:131], a[138:139], v[234:235], v[128:131]// 000000007A88: D3D70080 0E03D58A
	v_mfma_i32_16x16x32_i8 v[128:131], a[140:141], v[236:237], v[128:131]// 000000007A90: D3D70080 0E03D98C
	buffer_load_dword v27, s[20:23], 0 offen lds               // 000000007A98: E0511000 8005001B
	s_add_u32 m0, 0x200, s51                                   // 000000007AA0: 807C33FF 00000200
	v_mfma_i32_16x16x32_i8 v[128:131], a[142:143], v[238:239], v[128:131]// 000000007AA8: D3D70080 0E03DD8E
	v_mfma_i32_16x16x32_i8 v[132:135], a[128:129], v[240:241], v[132:135]// 000000007AB0: D3D70084 0E13E180
	buffer_load_dwordx4 a[8:11], v34, s[24:27], 0 offen offset:2048// 000000007AB8: E05C1800 80860822
	v_mfma_i32_16x16x32_i8 v[132:135], a[130:131], v[242:243], v[132:135]// 000000007AC0: D3D70084 0E13E582
	v_mfma_i32_16x16x32_i8 v[132:135], a[132:133], v[244:245], v[132:135]// 000000007AC8: D3D70084 0E13E984
	buffer_load_dword v28, s[20:23], 0 offen lds               // 000000007AD0: E0511000 8005001C
	s_add_u32 m0, 0x300, s51                                   // 000000007AD8: 807C33FF 00000300
	v_mfma_i32_16x16x32_i8 v[132:135], a[134:135], v[246:247], v[132:135]// 000000007AE0: D3D70084 0E13ED86
	v_mfma_i32_16x16x32_i8 v[132:135], a[136:137], v[248:249], v[132:135]// 000000007AE8: D3D70084 0E13F188
	buffer_load_dwordx4 a[12:15], v34, s[24:27], 0 offen offset:3072// 000000007AF0: E05C1C00 80860C22
	v_mfma_i32_16x16x32_i8 v[132:135], a[138:139], v[250:251], v[132:135]// 000000007AF8: D3D70084 0E13F58A
	v_mfma_i32_16x16x32_i8 v[132:135], a[140:141], v[252:253], v[132:135]// 000000007B00: D3D70084 0E13F98C
	buffer_load_dword v29, s[20:23], 0 offen lds               // 000000007B08: E0511000 8005001D
	s_add_u32 m0, 0x400, s51                                   // 000000007B10: 807C33FF 00000400
	v_mfma_i32_16x16x32_i8 v[132:135], a[142:143], v[254:255], v[132:135]// 000000007B18: D3D70084 0E13FD8E
	v_mfma_i32_16x16x32_i8 v[136:139], a[144:145], v[224:225], v[136:139]// 000000007B20: D3D70088 0E23C190
	buffer_load_dwordx4 a[16:19], v35, s[24:27], 0 offen       // 000000007B28: E05C1000 80861023
	v_mfma_i32_16x16x32_i8 v[136:139], a[146:147], v[226:227], v[136:139]// 000000007B30: D3D70088 0E23C592
	v_mfma_i32_16x16x32_i8 v[136:139], a[148:149], v[228:229], v[136:139]// 000000007B38: D3D70088 0E23C994
	buffer_load_dword v30, s[20:23], 0 offen lds               // 000000007B40: E0511000 8005001E
	s_add_u32 m0, 0x500, s51                                   // 000000007B48: 807C33FF 00000500
	v_mfma_i32_16x16x32_i8 v[136:139], a[150:151], v[230:231], v[136:139]// 000000007B50: D3D70088 0E23CD96
	v_mfma_i32_16x16x32_i8 v[136:139], a[152:153], v[232:233], v[136:139]// 000000007B58: D3D70088 0E23D198
	buffer_load_dwordx4 a[20:23], v35, s[24:27], 0 offen offset:1024// 000000007B60: E05C1400 80861423
	v_mfma_i32_16x16x32_i8 v[136:139], a[154:155], v[234:235], v[136:139]// 000000007B68: D3D70088 0E23D59A
	v_mfma_i32_16x16x32_i8 v[136:139], a[156:157], v[236:237], v[136:139]// 000000007B70: D3D70088 0E23D99C
	buffer_load_dword v31, s[20:23], 0 offen lds               // 000000007B78: E0511000 8005001F
	s_add_u32 m0, 0x600, s51                                   // 000000007B80: 807C33FF 00000600
	v_mfma_i32_16x16x32_i8 v[136:139], a[158:159], v[238:239], v[136:139]// 000000007B88: D3D70088 0E23DD9E
	v_mfma_i32_16x16x32_i8 v[140:143], a[144:145], v[240:241], v[140:143]// 000000007B90: D3D7008C 0E33E190
	buffer_load_dwordx4 a[24:27], v35, s[24:27], 0 offen offset:2048// 000000007B98: E05C1800 80861823
	v_mfma_i32_16x16x32_i8 v[140:143], a[146:147], v[242:243], v[140:143]// 000000007BA0: D3D7008C 0E33E592
	v_mfma_i32_16x16x32_i8 v[140:143], a[148:149], v[244:245], v[140:143]// 000000007BA8: D3D7008C 0E33E994
	buffer_load_dword v32, s[20:23], 0 offen lds               // 000000007BB0: E0511000 80050020
	s_add_u32 m0, 0x700, s51                                   // 000000007BB8: 807C33FF 00000700
	v_mfma_i32_16x16x32_i8 v[140:143], a[150:151], v[246:247], v[140:143]// 000000007BC0: D3D7008C 0E33ED96
	v_mfma_i32_16x16x32_i8 v[140:143], a[152:153], v[248:249], v[140:143]// 000000007BC8: D3D7008C 0E33F198
	buffer_load_dwordx4 a[28:31], v35, s[24:27], 0 offen offset:3072// 000000007BD0: E05C1C00 80861C23
	v_mfma_i32_16x16x32_i8 v[140:143], a[154:155], v[250:251], v[140:143]// 000000007BD8: D3D7008C 0E33F59A
	v_mfma_i32_16x16x32_i8 v[140:143], a[156:157], v[252:253], v[140:143]// 000000007BE0: D3D7008C 0E33F99C
	buffer_load_dword v33, s[20:23], 0 offen lds               // 000000007BE8: E0511000 80050021
	s_add_u32 m0, 0, s50                                       // 000000007BF0: 807C3280
	v_mfma_i32_16x16x32_i8 v[140:143], a[158:159], v[254:255], v[140:143]// 000000007BF4: D3D7008C 0E33FD9E
	s_waitcnt vmcnt(36)                                        // 000000007BFC: BF8C8F74
	v_mfma_i32_16x16x32_i8 v[144:147], a[160:161], v[224:225], v[144:147]// 000000007C00: D3D70090 0E43C1A0
	buffer_load_dwordx4 a[32:35], v36, s[24:27], 0 offen       // 000000007C08: E05C1000 80862024
	v_mfma_i32_16x16x32_i8 v[144:147], a[162:163], v[226:227], v[144:147]// 000000007C10: D3D70090 0E43C5A2
	v_mfma_i32_16x16x32_i8 v[144:147], a[164:165], v[228:229], v[144:147]// 000000007C18: D3D70090 0E43C9A4
	ds_read_b128 v[192:195], v2                                // 000000007C20: D9FE0000 C0000002
	v_mfma_i32_16x16x32_i8 v[144:147], a[166:167], v[230:231], v[144:147]// 000000007C28: D3D70090 0E43CDA6
	v_mfma_i32_16x16x32_i8 v[144:147], a[168:169], v[232:233], v[144:147]// 000000007C30: D3D70090 0E43D1A8
	buffer_load_dwordx4 a[36:39], v36, s[24:27], 0 offen offset:1024// 000000007C38: E05C1400 80862424
	v_mfma_i32_16x16x32_i8 v[144:147], a[170:171], v[234:235], v[144:147]// 000000007C40: D3D70090 0E43D5AA
	v_mfma_i32_16x16x32_i8 v[144:147], a[172:173], v[236:237], v[144:147]// 000000007C48: D3D70090 0E43D9AC
	ds_read_b128 v[196:199], v2 offset:64                      // 000000007C50: D9FE0040 C4000002
	v_mfma_i32_16x16x32_i8 v[144:147], a[174:175], v[238:239], v[144:147]// 000000007C58: D3D70090 0E43DDAE
	v_mfma_i32_16x16x32_i8 v[148:151], a[160:161], v[240:241], v[148:151]// 000000007C60: D3D70094 0E53E1A0
	buffer_load_dwordx4 a[40:43], v36, s[24:27], 0 offen offset:2048// 000000007C68: E05C1800 80862824
	v_mfma_i32_16x16x32_i8 v[148:151], a[162:163], v[242:243], v[148:151]// 000000007C70: D3D70094 0E53E5A2
	v_mfma_i32_16x16x32_i8 v[148:151], a[164:165], v[244:245], v[148:151]// 000000007C78: D3D70094 0E53E9A4
	ds_read_b128 v[200:203], v2 offset:128                     // 000000007C80: D9FE0080 C8000002
	v_mfma_i32_16x16x32_i8 v[148:151], a[166:167], v[246:247], v[148:151]// 000000007C88: D3D70094 0E53EDA6
	v_mfma_i32_16x16x32_i8 v[148:151], a[168:169], v[248:249], v[148:151]// 000000007C90: D3D70094 0E53F1A8
	buffer_load_dwordx4 a[44:47], v36, s[24:27], 0 offen offset:3072// 000000007C98: E05C1C00 80862C24
	v_mfma_i32_16x16x32_i8 v[148:151], a[170:171], v[250:251], v[148:151]// 000000007CA0: D3D70094 0E53F5AA
	v_mfma_i32_16x16x32_i8 v[148:151], a[172:173], v[252:253], v[148:151]// 000000007CA8: D3D70094 0E53F9AC
	ds_read_b128 v[204:207], v2 offset:192                     // 000000007CB0: D9FE00C0 CC000002
	v_mfma_i32_16x16x32_i8 v[148:151], a[174:175], v[254:255], v[148:151]// 000000007CB8: D3D70094 0E53FDAE
	s_waitcnt vmcnt(36)                                        // 000000007CC0: BF8C8F74
	v_mfma_i32_16x16x32_i8 v[152:155], a[176:177], v[224:225], v[152:155]// 000000007CC4: D3D70098 0E63C1B0
	buffer_load_dwordx4 a[48:51], v37, s[24:27], 0 offen       // 000000007CCC: E05C1000 80863025
	v_mfma_i32_16x16x32_i8 v[152:155], a[178:179], v[226:227], v[152:155]// 000000007CD4: D3D70098 0E63C5B2
	v_mfma_i32_16x16x32_i8 v[152:155], a[180:181], v[228:229], v[152:155]// 000000007CDC: D3D70098 0E63C9B4
	ds_read_b128 v[208:211], v2 offset:1024                    // 000000007CE4: D9FE0400 D0000002
	v_mfma_i32_16x16x32_i8 v[152:155], a[182:183], v[230:231], v[152:155]// 000000007CEC: D3D70098 0E63CDB6
	v_mfma_i32_16x16x32_i8 v[152:155], a[184:185], v[232:233], v[152:155]// 000000007CF4: D3D70098 0E63D1B8
	buffer_load_dwordx4 a[52:55], v37, s[24:27], 0 offen offset:1024// 000000007CFC: E05C1400 80863425
	v_mfma_i32_16x16x32_i8 v[152:155], a[186:187], v[234:235], v[152:155]// 000000007D04: D3D70098 0E63D5BA
	v_mfma_i32_16x16x32_i8 v[152:155], a[188:189], v[236:237], v[152:155]// 000000007D0C: D3D70098 0E63D9BC
	ds_read_b128 v[212:215], v2 offset:1088                    // 000000007D14: D9FE0440 D4000002
	v_mfma_i32_16x16x32_i8 v[152:155], a[190:191], v[238:239], v[152:155]// 000000007D1C: D3D70098 0E63DDBE
	v_mfma_i32_16x16x32_i8 v[156:159], a[176:177], v[240:241], v[156:159]// 000000007D24: D3D7009C 0E73E1B0
	buffer_load_dwordx4 a[56:59], v37, s[24:27], 0 offen offset:2048// 000000007D2C: E05C1800 80863825
	v_mfma_i32_16x16x32_i8 v[156:159], a[178:179], v[242:243], v[156:159]// 000000007D34: D3D7009C 0E73E5B2
	v_mfma_i32_16x16x32_i8 v[156:159], a[180:181], v[244:245], v[156:159]// 000000007D3C: D3D7009C 0E73E9B4
	ds_read_b128 v[216:219], v2 offset:1152                    // 000000007D44: D9FE0480 D8000002
	v_mfma_i32_16x16x32_i8 v[156:159], a[182:183], v[246:247], v[156:159]// 000000007D4C: D3D7009C 0E73EDB6
	v_mfma_i32_16x16x32_i8 v[156:159], a[184:185], v[248:249], v[156:159]// 000000007D54: D3D7009C 0E73F1B8
	buffer_load_dwordx4 a[60:63], v37, s[24:27], 0 offen offset:3072// 000000007D5C: E05C1C00 80863C25
	v_mfma_i32_16x16x32_i8 v[156:159], a[186:187], v[250:251], v[156:159]// 000000007D64: D3D7009C 0E73F5BA
	v_mfma_i32_16x16x32_i8 v[156:159], a[188:189], v[252:253], v[156:159]// 000000007D6C: D3D7009C 0E73F9BC
	ds_read_b128 v[220:223], v2 offset:1216                    // 000000007D74: D9FE04C0 DC000002
	v_mfma_i32_16x16x32_i8 v[156:159], a[190:191], v[254:255], v[156:159]// 000000007D7C: D3D7009C 0E73FDBE
	s_waitcnt vmcnt(36)                                        // 000000007D84: BF8C8F74
	v_mfma_i32_16x16x32_i8 v[160:163], a[192:193], v[224:225], v[160:163]// 000000007D88: D3D700A0 0E83C1C0
	buffer_load_dwordx4 a[64:67], v38, s[24:27], 0 offen       // 000000007D90: E05C1000 80864026
	v_mfma_i32_16x16x32_i8 v[160:163], a[194:195], v[226:227], v[160:163]// 000000007D98: D3D700A0 0E83C5C2
	v_mfma_i32_16x16x32_i8 v[160:163], a[196:197], v[228:229], v[160:163]// 000000007DA0: D3D700A0 0E83C9C4
	v_mfma_i32_16x16x32_i8 v[160:163], a[198:199], v[230:231], v[160:163]// 000000007DA8: D3D700A0 0E83CDC6
	v_mfma_i32_16x16x32_i8 v[160:163], a[200:201], v[232:233], v[160:163]// 000000007DB0: D3D700A0 0E83D1C8
	buffer_load_dwordx4 a[68:71], v38, s[24:27], 0 offen offset:1024// 000000007DB8: E05C1400 80864426
	v_mfma_i32_16x16x32_i8 v[160:163], a[202:203], v[234:235], v[160:163]// 000000007DC0: D3D700A0 0E83D5CA
	v_mfma_i32_16x16x32_i8 v[160:163], a[204:205], v[236:237], v[160:163]// 000000007DC8: D3D700A0 0E83D9CC
	v_mfma_i32_16x16x32_i8 v[160:163], a[206:207], v[238:239], v[160:163]// 000000007DD0: D3D700A0 0E83DDCE
	v_mfma_i32_16x16x32_i8 v[164:167], a[192:193], v[240:241], v[164:167]// 000000007DD8: D3D700A4 0E93E1C0
	buffer_load_dwordx4 a[72:75], v38, s[24:27], 0 offen offset:2048// 000000007DE0: E05C1800 80864826
	v_mfma_i32_16x16x32_i8 v[164:167], a[194:195], v[242:243], v[164:167]// 000000007DE8: D3D700A4 0E93E5C2
	v_mfma_i32_16x16x32_i8 v[164:167], a[196:197], v[244:245], v[164:167]// 000000007DF0: D3D700A4 0E93E9C4
	v_mfma_i32_16x16x32_i8 v[164:167], a[198:199], v[246:247], v[164:167]// 000000007DF8: D3D700A4 0E93EDC6
	v_mfma_i32_16x16x32_i8 v[164:167], a[200:201], v[248:249], v[164:167]// 000000007E00: D3D700A4 0E93F1C8
	buffer_load_dwordx4 a[76:79], v38, s[24:27], 0 offen offset:3072// 000000007E08: E05C1C00 80864C26
	v_mfma_i32_16x16x32_i8 v[164:167], a[202:203], v[250:251], v[164:167]// 000000007E10: D3D700A4 0E93F5CA
	v_mfma_i32_16x16x32_i8 v[164:167], a[204:205], v[252:253], v[164:167]// 000000007E18: D3D700A4 0E93F9CC
	v_mfma_i32_16x16x32_i8 v[164:167], a[206:207], v[254:255], v[164:167]// 000000007E20: D3D700A4 0E93FDCE
	s_waitcnt vmcnt(36)                                        // 000000007E28: BF8C8F74
	v_mfma_i32_16x16x32_i8 v[168:171], a[208:209], v[224:225], v[168:171]// 000000007E2C: D3D700A8 0EA3C1D0
	buffer_load_dwordx4 a[80:83], v39, s[24:27], 0 offen       // 000000007E34: E05C1000 80865027
	v_mfma_i32_16x16x32_i8 v[168:171], a[210:211], v[226:227], v[168:171]// 000000007E3C: D3D700A8 0EA3C5D2
	v_mfma_i32_16x16x32_i8 v[168:171], a[212:213], v[228:229], v[168:171]// 000000007E44: D3D700A8 0EA3C9D4
	v_mfma_i32_16x16x32_i8 v[168:171], a[214:215], v[230:231], v[168:171]// 000000007E4C: D3D700A8 0EA3CDD6
	v_mfma_i32_16x16x32_i8 v[168:171], a[216:217], v[232:233], v[168:171]// 000000007E54: D3D700A8 0EA3D1D8
	buffer_load_dwordx4 a[84:87], v39, s[24:27], 0 offen offset:1024// 000000007E5C: E05C1400 80865427
	v_mfma_i32_16x16x32_i8 v[168:171], a[218:219], v[234:235], v[168:171]// 000000007E64: D3D700A8 0EA3D5DA
	v_mfma_i32_16x16x32_i8 v[168:171], a[220:221], v[236:237], v[168:171]// 000000007E6C: D3D700A8 0EA3D9DC
	v_mfma_i32_16x16x32_i8 v[168:171], a[222:223], v[238:239], v[168:171]// 000000007E74: D3D700A8 0EA3DDDE
	v_mfma_i32_16x16x32_i8 v[172:175], a[208:209], v[240:241], v[172:175]// 000000007E7C: D3D700AC 0EB3E1D0
	buffer_load_dwordx4 a[88:91], v39, s[24:27], 0 offen offset:2048// 000000007E84: E05C1800 80865827
	v_mfma_i32_16x16x32_i8 v[172:175], a[210:211], v[242:243], v[172:175]// 000000007E8C: D3D700AC 0EB3E5D2
	v_mfma_i32_16x16x32_i8 v[172:175], a[212:213], v[244:245], v[172:175]// 000000007E94: D3D700AC 0EB3E9D4
	v_mfma_i32_16x16x32_i8 v[172:175], a[214:215], v[246:247], v[172:175]// 000000007E9C: D3D700AC 0EB3EDD6
	v_mfma_i32_16x16x32_i8 v[172:175], a[216:217], v[248:249], v[172:175]// 000000007EA4: D3D700AC 0EB3F1D8
	buffer_load_dwordx4 a[92:95], v39, s[24:27], 0 offen offset:3072// 000000007EAC: E05C1C00 80865C27
	v_mfma_i32_16x16x32_i8 v[172:175], a[218:219], v[250:251], v[172:175]// 000000007EB4: D3D700AC 0EB3F5DA
	v_mfma_i32_16x16x32_i8 v[172:175], a[220:221], v[252:253], v[172:175]// 000000007EBC: D3D700AC 0EB3F9DC
	v_mfma_i32_16x16x32_i8 v[172:175], a[222:223], v[254:255], v[172:175]// 000000007EC4: D3D700AC 0EB3FDDE
	s_waitcnt vmcnt(36)                                        // 000000007ECC: BF8C8F74
	v_mfma_i32_16x16x32_i8 v[176:179], a[224:225], v[224:225], v[176:179]// 000000007ED0: D3D700B0 0EC3C1E0
	buffer_load_dwordx4 a[96:99], v40, s[24:27], 0 offen       // 000000007ED8: E05C1000 80866028
	v_mfma_i32_16x16x32_i8 v[176:179], a[226:227], v[226:227], v[176:179]// 000000007EE0: D3D700B0 0EC3C5E2
	v_mfma_i32_16x16x32_i8 v[176:179], a[228:229], v[228:229], v[176:179]// 000000007EE8: D3D700B0 0EC3C9E4
	v_mfma_i32_16x16x32_i8 v[176:179], a[230:231], v[230:231], v[176:179]// 000000007EF0: D3D700B0 0EC3CDE6
	v_mfma_i32_16x16x32_i8 v[176:179], a[232:233], v[232:233], v[176:179]// 000000007EF8: D3D700B0 0EC3D1E8
	buffer_load_dwordx4 a[100:103], v40, s[24:27], 0 offen offset:1024// 000000007F00: E05C1400 80866428
	v_mfma_i32_16x16x32_i8 v[176:179], a[234:235], v[234:235], v[176:179]// 000000007F08: D3D700B0 0EC3D5EA
	v_mfma_i32_16x16x32_i8 v[176:179], a[236:237], v[236:237], v[176:179]// 000000007F10: D3D700B0 0EC3D9EC
	v_mfma_i32_16x16x32_i8 v[176:179], a[238:239], v[238:239], v[176:179]// 000000007F18: D3D700B0 0EC3DDEE
	v_mfma_i32_16x16x32_i8 v[180:183], a[224:225], v[240:241], v[180:183]// 000000007F20: D3D700B4 0ED3E1E0
	buffer_load_dwordx4 a[104:107], v40, s[24:27], 0 offen offset:2048// 000000007F28: E05C1800 80866828
	v_mfma_i32_16x16x32_i8 v[180:183], a[226:227], v[242:243], v[180:183]// 000000007F30: D3D700B4 0ED3E5E2
	v_mfma_i32_16x16x32_i8 v[180:183], a[228:229], v[244:245], v[180:183]// 000000007F38: D3D700B4 0ED3E9E4
	v_mfma_i32_16x16x32_i8 v[180:183], a[230:231], v[246:247], v[180:183]// 000000007F40: D3D700B4 0ED3EDE6
	v_mfma_i32_16x16x32_i8 v[180:183], a[232:233], v[248:249], v[180:183]// 000000007F48: D3D700B4 0ED3F1E8
	buffer_load_dwordx4 a[108:111], v40, s[24:27], 0 offen offset:3072// 000000007F50: E05C1C00 80866C28
	v_mfma_i32_16x16x32_i8 v[180:183], a[234:235], v[250:251], v[180:183]// 000000007F58: D3D700B4 0ED3F5EA
	v_mfma_i32_16x16x32_i8 v[180:183], a[236:237], v[252:253], v[180:183]// 000000007F60: D3D700B4 0ED3F9EC
	v_mfma_i32_16x16x32_i8 v[180:183], a[238:239], v[254:255], v[180:183]// 000000007F68: D3D700B4 0ED3FDEE
	s_waitcnt vmcnt(36)                                        // 000000007F70: BF8C8F74
	v_mfma_i32_16x16x32_i8 v[184:187], a[240:241], v[224:225], v[184:187]// 000000007F74: D3D700B8 0EE3C1F0
	buffer_load_dwordx4 a[112:115], v41, s[24:27], 0 offen     // 000000007F7C: E05C1000 80867029
	v_mfma_i32_16x16x32_i8 v[184:187], a[242:243], v[226:227], v[184:187]// 000000007F84: D3D700B8 0EE3C5F2
	v_mfma_i32_16x16x32_i8 v[184:187], a[244:245], v[228:229], v[184:187]// 000000007F8C: D3D700B8 0EE3C9F4
	v_mfma_i32_16x16x32_i8 v[184:187], a[246:247], v[230:231], v[184:187]// 000000007F94: D3D700B8 0EE3CDF6
	v_mfma_i32_16x16x32_i8 v[184:187], a[248:249], v[232:233], v[184:187]// 000000007F9C: D3D700B8 0EE3D1F8
	buffer_load_dwordx4 a[116:119], v41, s[24:27], 0 offen offset:1024// 000000007FA4: E05C1400 80867429
	v_mfma_i32_16x16x32_i8 v[184:187], a[250:251], v[234:235], v[184:187]// 000000007FAC: D3D700B8 0EE3D5FA
	v_mfma_i32_16x16x32_i8 v[184:187], a[252:253], v[236:237], v[184:187]// 000000007FB4: D3D700B8 0EE3D9FC
	v_mfma_i32_16x16x32_i8 v[184:187], a[254:255], v[238:239], v[184:187]// 000000007FBC: D3D700B8 0EE3DDFE
	v_mfma_i32_16x16x32_i8 v[188:191], a[240:241], v[240:241], v[188:191]// 000000007FC4: D3D700BC 0EF3E1F0
	buffer_load_dwordx4 a[120:123], v41, s[24:27], 0 offen offset:2048// 000000007FCC: E05C1800 80867829
	v_mfma_i32_16x16x32_i8 v[188:191], a[242:243], v[242:243], v[188:191]// 000000007FD4: D3D700BC 0EF3E5F2
	v_mfma_i32_16x16x32_i8 v[188:191], a[244:245], v[244:245], v[188:191]// 000000007FDC: D3D700BC 0EF3E9F4
	v_mfma_i32_16x16x32_i8 v[188:191], a[246:247], v[246:247], v[188:191]// 000000007FE4: D3D700BC 0EF3EDF6
	v_mfma_i32_16x16x32_i8 v[188:191], a[248:249], v[248:249], v[188:191]// 000000007FEC: D3D700BC 0EF3F1F8
	buffer_load_dwordx4 a[124:127], v41, s[24:27], 0 offen offset:3072// 000000007FF4: E05C1C00 80867C29
	v_mfma_i32_16x16x32_i8 v[188:191], a[250:251], v[250:251], v[188:191]// 000000007FFC: D3D700BC 0EF3F5FA
	v_mfma_i32_16x16x32_i8 v[188:191], a[252:253], v[252:253], v[188:191]// 000000008004: D3D700BC 0EF3F9FC
	v_mfma_i32_16x16x32_i8 v[188:191], a[254:255], v[254:255], v[188:191]// 00000000800C: D3D700BC 0EF3FDFE
	s_add_u32 s60, 0x300, s80                                  // 000000008014: 803C50FF 00000300
	s_cmp_lt_u32 s60, s81                                      // 00000000801C: BF0A513C
	s_cselect_b32 s57, s57, 0                                  // 000000008020: 85398039
	s_add_u32 s60, 0x200, s80                                  // 000000008024: 803C50FF 00000200
	s_cmp_lt_u32 s60, s81                                      // 00000000802C: BF0A513C
	s_cselect_b32 s58, s58, 0                                  // 000000008030: 853A803A
	s_add_u32 s20, s57, s20                                    // 000000008034: 80141439
	s_addc_u32 s21, 0, s21                                     // 000000008038: 82151580
	s_add_u32 s24, s58, s24                                    // 00000000803C: 8018183A
	s_addc_u32 s25, 0, s25                                     // 000000008040: 82191980
	s_addk_i32 s80, 0x100                                      // 000000008044: B7500100
	s_cmp_lt_i32 s80, s81                                      // 000000008048: BF045150
	s_cbranch_scc0 label_1495                                  // 00000000804C: BF840001
	s_branch label_1188                                        // 000000008050: BF82FCF3

0000000000008054 <label_1495>:
	s_mov_b32 s36, -1                                          // 000000008054: BEA400C1
	s_mov_b32 s37, -1                                          // 000000008058: BEA500C1
	s_mov_b64 s[60:61], 0                                      // 00000000805C: BEBC0180
	s_cmp_lt_u32 s82, s66                                      // 000000008060: BF0A4252
	s_cselect_b64 s[20:21], s[36:37], s[60:61]                 // 000000008064: 85943C24
	s_cmp_lt_u32 s83, s66                                      // 000000008068: BF0A4253
	s_cselect_b64 s[22:23], s[36:37], s[60:61]                 // 00000000806C: 85963C24
	s_cmp_lt_u32 s84, s66                                      // 000000008070: BF0A4254
	s_cselect_b64 s[24:25], s[36:37], s[60:61]                 // 000000008074: 85983C24
	s_cmp_lt_u32 s85, s66                                      // 000000008078: BF0A4255
	s_cselect_b64 s[26:27], s[36:37], s[60:61]                 // 00000000807C: 859A3C24
	s_cmp_lt_u32 s86, s66                                      // 000000008080: BF0A4256
	s_cselect_b64 s[28:29], s[36:37], s[60:61]                 // 000000008084: 859C3C24
	s_cmp_lt_u32 s87, s66                                      // 000000008088: BF0A4257
	s_cselect_b64 s[30:31], s[36:37], s[60:61]                 // 00000000808C: 859E3C24
	s_cmp_lt_u32 s88, s66                                      // 000000008090: BF0A4258
	s_cselect_b64 s[32:33], s[36:37], s[60:61]                 // 000000008094: 85A03C24
	s_cmp_lt_u32 s89, s66                                      // 000000008098: BF0A4259
	s_cselect_b64 s[34:35], s[36:37], s[60:61]                 // 00000000809C: 85A23C24
	v_cvt_f32_i32_e32 v128, v128                               // 0000000080A0: 7F000B80
	v_cvt_f32_i32_e32 v129, v129                               // 0000000080A4: 7F020B81
	v_cvt_f32_i32_e32 v130, v130                               // 0000000080A8: 7F040B82
	v_cvt_f32_i32_e32 v131, v131                               // 0000000080AC: 7F060B83
	v_mul_f32_e32 v128, v14, v128                              // 0000000080B0: 0B01010E
	v_mul_f32_e32 v129, v14, v129                              // 0000000080B4: 0B03030E
	v_mul_f32_e32 v130, v14, v130                              // 0000000080B8: 0B05050E
	v_mul_f32_e32 v131, v14, v131                              // 0000000080BC: 0B07070E
	v_mul_f32_dpp v128, v16, v128 row_newbcast:0 row_mask:0xf bank_mask:0xf// 0000000080C0: 0B0100FA FF015010
	v_mul_f32_dpp v129, v16, v129 row_newbcast:1 row_mask:0xf bank_mask:0xf// 0000000080C8: 0B0302FA FF015110
	v_mul_f32_dpp v130, v16, v130 row_newbcast:2 row_mask:0xf bank_mask:0xf// 0000000080D0: 0B0504FA FF015210
	v_mul_f32_dpp v131, v16, v131 row_newbcast:3 row_mask:0xf bank_mask:0xf// 0000000080D8: 0B0706FA FF015310
	v_cvt_f32_i32_e32 v132, v132                               // 0000000080E0: 7F080B84
	v_cvt_f32_i32_e32 v133, v133                               // 0000000080E4: 7F0A0B85
	v_cvt_f32_i32_e32 v134, v134                               // 0000000080E8: 7F0C0B86
	v_cvt_f32_i32_e32 v135, v135                               // 0000000080EC: 7F0E0B87
	v_mul_f32_e32 v132, v15, v132                              // 0000000080F0: 0B09090F
	v_mul_f32_e32 v133, v15, v133                              // 0000000080F4: 0B0B0B0F
	v_mul_f32_e32 v134, v15, v134                              // 0000000080F8: 0B0D0D0F
	v_mul_f32_e32 v135, v15, v135                              // 0000000080FC: 0B0F0F0F
	v_mul_f32_dpp v132, v16, v132 row_newbcast:0 row_mask:0xf bank_mask:0xf// 000000008100: 0B0908FA FF015010
	v_mul_f32_dpp v133, v16, v133 row_newbcast:1 row_mask:0xf bank_mask:0xf// 000000008108: 0B0B0AFA FF015110
	v_mul_f32_dpp v134, v16, v134 row_newbcast:2 row_mask:0xf bank_mask:0xf// 000000008110: 0B0D0CFA FF015210
	v_mul_f32_dpp v135, v16, v135 row_newbcast:3 row_mask:0xf bank_mask:0xf// 000000008118: 0B0F0EFA FF015310
	v_cvt_f32_i32_e32 v136, v136                               // 000000008120: 7F100B88
	v_cvt_f32_i32_e32 v137, v137                               // 000000008124: 7F120B89
	v_cvt_f32_i32_e32 v138, v138                               // 000000008128: 7F140B8A
	v_cvt_f32_i32_e32 v139, v139                               // 00000000812C: 7F160B8B
	v_mul_f32_e32 v136, v14, v136                              // 000000008130: 0B11110E
	v_mul_f32_e32 v137, v14, v137                              // 000000008134: 0B13130E
	v_mul_f32_e32 v138, v14, v138                              // 000000008138: 0B15150E
	v_mul_f32_e32 v139, v14, v139                              // 00000000813C: 0B17170E
	v_mul_f32_dpp v136, v16, v136 row_newbcast:4 row_mask:0xf bank_mask:0xf// 000000008140: 0B1110FA FF015410
	v_mul_f32_dpp v137, v16, v137 row_newbcast:5 row_mask:0xf bank_mask:0xf// 000000008148: 0B1312FA FF015510
	v_mul_f32_dpp v138, v16, v138 row_newbcast:6 row_mask:0xf bank_mask:0xf// 000000008150: 0B1514FA FF015610
	v_mul_f32_dpp v139, v16, v139 row_newbcast:7 row_mask:0xf bank_mask:0xf// 000000008158: 0B1716FA FF015710
	v_cvt_f32_i32_e32 v140, v140                               // 000000008160: 7F180B8C
	v_cvt_f32_i32_e32 v141, v141                               // 000000008164: 7F1A0B8D
	v_cvt_f32_i32_e32 v142, v142                               // 000000008168: 7F1C0B8E
	v_cvt_f32_i32_e32 v143, v143                               // 00000000816C: 7F1E0B8F
	v_mul_f32_e32 v140, v15, v140                              // 000000008170: 0B19190F
	v_mul_f32_e32 v141, v15, v141                              // 000000008174: 0B1B1B0F
	v_mul_f32_e32 v142, v15, v142                              // 000000008178: 0B1D1D0F
	v_mul_f32_e32 v143, v15, v143                              // 00000000817C: 0B1F1F0F
	v_mul_f32_dpp v140, v16, v140 row_newbcast:4 row_mask:0xf bank_mask:0xf// 000000008180: 0B1918FA FF015410
	v_mul_f32_dpp v141, v16, v141 row_newbcast:5 row_mask:0xf bank_mask:0xf// 000000008188: 0B1B1AFA FF015510
	v_mul_f32_dpp v142, v16, v142 row_newbcast:6 row_mask:0xf bank_mask:0xf// 000000008190: 0B1D1CFA FF015610
	v_mul_f32_dpp v143, v16, v143 row_newbcast:7 row_mask:0xf bank_mask:0xf// 000000008198: 0B1F1EFA FF015710
	v_cvt_f32_i32_e32 v144, v144                               // 0000000081A0: 7F200B90
	v_cvt_f32_i32_e32 v145, v145                               // 0000000081A4: 7F220B91
	v_cvt_f32_i32_e32 v146, v146                               // 0000000081A8: 7F240B92
	v_cvt_f32_i32_e32 v147, v147                               // 0000000081AC: 7F260B93
	v_mul_f32_e32 v144, v14, v144                              // 0000000081B0: 0B21210E
	v_mul_f32_e32 v145, v14, v145                              // 0000000081B4: 0B23230E
	v_mul_f32_e32 v146, v14, v146                              // 0000000081B8: 0B25250E
	v_mul_f32_e32 v147, v14, v147                              // 0000000081BC: 0B27270E
	v_mul_f32_dpp v144, v16, v144 row_newbcast:8 row_mask:0xf bank_mask:0xf// 0000000081C0: 0B2120FA FF015810
	v_mul_f32_dpp v145, v16, v145 row_newbcast:9 row_mask:0xf bank_mask:0xf// 0000000081C8: 0B2322FA FF015910
	v_mul_f32_dpp v146, v16, v146 row_newbcast:10 row_mask:0xf bank_mask:0xf// 0000000081D0: 0B2524FA FF015A10
	v_mul_f32_dpp v147, v16, v147 row_newbcast:11 row_mask:0xf bank_mask:0xf// 0000000081D8: 0B2726FA FF015B10
	v_cvt_f32_i32_e32 v148, v148                               // 0000000081E0: 7F280B94
	v_cvt_f32_i32_e32 v149, v149                               // 0000000081E4: 7F2A0B95
	v_cvt_f32_i32_e32 v150, v150                               // 0000000081E8: 7F2C0B96
	v_cvt_f32_i32_e32 v151, v151                               // 0000000081EC: 7F2E0B97
	v_mul_f32_e32 v148, v15, v148                              // 0000000081F0: 0B29290F
	v_mul_f32_e32 v149, v15, v149                              // 0000000081F4: 0B2B2B0F
	v_mul_f32_e32 v150, v15, v150                              // 0000000081F8: 0B2D2D0F
	v_mul_f32_e32 v151, v15, v151                              // 0000000081FC: 0B2F2F0F
	v_mul_f32_dpp v148, v16, v148 row_newbcast:8 row_mask:0xf bank_mask:0xf// 000000008200: 0B2928FA FF015810
	v_mul_f32_dpp v149, v16, v149 row_newbcast:9 row_mask:0xf bank_mask:0xf// 000000008208: 0B2B2AFA FF015910
	v_mul_f32_dpp v150, v16, v150 row_newbcast:10 row_mask:0xf bank_mask:0xf// 000000008210: 0B2D2CFA FF015A10
	v_mul_f32_dpp v151, v16, v151 row_newbcast:11 row_mask:0xf bank_mask:0xf// 000000008218: 0B2F2EFA FF015B10
	v_cvt_f32_i32_e32 v152, v152                               // 000000008220: 7F300B98
	v_cvt_f32_i32_e32 v153, v153                               // 000000008224: 7F320B99
	v_cvt_f32_i32_e32 v154, v154                               // 000000008228: 7F340B9A
	v_cvt_f32_i32_e32 v155, v155                               // 00000000822C: 7F360B9B
	v_mul_f32_e32 v152, v14, v152                              // 000000008230: 0B31310E
	v_mul_f32_e32 v153, v14, v153                              // 000000008234: 0B33330E
	v_mul_f32_e32 v154, v14, v154                              // 000000008238: 0B35350E
	v_mul_f32_e32 v155, v14, v155                              // 00000000823C: 0B37370E
	v_mul_f32_dpp v152, v16, v152 row_newbcast:12 row_mask:0xf bank_mask:0xf// 000000008240: 0B3130FA FF015C10
	v_mul_f32_dpp v153, v16, v153 row_newbcast:13 row_mask:0xf bank_mask:0xf// 000000008248: 0B3332FA FF015D10
	v_mul_f32_dpp v154, v16, v154 row_newbcast:14 row_mask:0xf bank_mask:0xf// 000000008250: 0B3534FA FF015E10
	v_mul_f32_dpp v155, v16, v155 row_newbcast:15 row_mask:0xf bank_mask:0xf// 000000008258: 0B3736FA FF015F10
	v_cvt_f32_i32_e32 v156, v156                               // 000000008260: 7F380B9C
	v_cvt_f32_i32_e32 v157, v157                               // 000000008264: 7F3A0B9D
	v_cvt_f32_i32_e32 v158, v158                               // 000000008268: 7F3C0B9E
	v_cvt_f32_i32_e32 v159, v159                               // 00000000826C: 7F3E0B9F
	v_mul_f32_e32 v156, v15, v156                              // 000000008270: 0B39390F
	v_mul_f32_e32 v157, v15, v157                              // 000000008274: 0B3B3B0F
	v_mul_f32_e32 v158, v15, v158                              // 000000008278: 0B3D3D0F
	v_mul_f32_e32 v159, v15, v159                              // 00000000827C: 0B3F3F0F
	v_mul_f32_dpp v156, v16, v156 row_newbcast:12 row_mask:0xf bank_mask:0xf// 000000008280: 0B3938FA FF015C10
	v_mul_f32_dpp v157, v16, v157 row_newbcast:13 row_mask:0xf bank_mask:0xf// 000000008288: 0B3B3AFA FF015D10
	v_mul_f32_dpp v158, v16, v158 row_newbcast:14 row_mask:0xf bank_mask:0xf// 000000008290: 0B3D3CFA FF015E10
	v_mul_f32_dpp v159, v16, v159 row_newbcast:15 row_mask:0xf bank_mask:0xf// 000000008298: 0B3F3EFA FF015F10
	v_cvt_f32_i32_e32 v160, v160                               // 0000000082A0: 7F400BA0
	v_cvt_f32_i32_e32 v161, v161                               // 0000000082A4: 7F420BA1
	v_cvt_f32_i32_e32 v162, v162                               // 0000000082A8: 7F440BA2
	v_cvt_f32_i32_e32 v163, v163                               // 0000000082AC: 7F460BA3
	v_mul_f32_e32 v160, v14, v160                              // 0000000082B0: 0B41410E
	v_mul_f32_e32 v161, v14, v161                              // 0000000082B4: 0B43430E
	v_mul_f32_e32 v162, v14, v162                              // 0000000082B8: 0B45450E
	v_mul_f32_e32 v163, v14, v163                              // 0000000082BC: 0B47470E
	v_mul_f32_dpp v160, v17, v160 row_newbcast:0 row_mask:0xf bank_mask:0xf// 0000000082C0: 0B4140FA FF015011
	v_mul_f32_dpp v161, v17, v161 row_newbcast:1 row_mask:0xf bank_mask:0xf// 0000000082C8: 0B4342FA FF015111
	v_mul_f32_dpp v162, v17, v162 row_newbcast:2 row_mask:0xf bank_mask:0xf// 0000000082D0: 0B4544FA FF015211
	v_mul_f32_dpp v163, v17, v163 row_newbcast:3 row_mask:0xf bank_mask:0xf// 0000000082D8: 0B4746FA FF015311
	v_cvt_f32_i32_e32 v164, v164                               // 0000000082E0: 7F480BA4
	v_cvt_f32_i32_e32 v165, v165                               // 0000000082E4: 7F4A0BA5
	v_cvt_f32_i32_e32 v166, v166                               // 0000000082E8: 7F4C0BA6
	v_cvt_f32_i32_e32 v167, v167                               // 0000000082EC: 7F4E0BA7
	v_mul_f32_e32 v164, v15, v164                              // 0000000082F0: 0B49490F
	v_mul_f32_e32 v165, v15, v165                              // 0000000082F4: 0B4B4B0F
	v_mul_f32_e32 v166, v15, v166                              // 0000000082F8: 0B4D4D0F
	v_mul_f32_e32 v167, v15, v167                              // 0000000082FC: 0B4F4F0F
	v_mul_f32_dpp v164, v17, v164 row_newbcast:0 row_mask:0xf bank_mask:0xf// 000000008300: 0B4948FA FF015011
	v_mul_f32_dpp v165, v17, v165 row_newbcast:1 row_mask:0xf bank_mask:0xf// 000000008308: 0B4B4AFA FF015111
	v_mul_f32_dpp v166, v17, v166 row_newbcast:2 row_mask:0xf bank_mask:0xf// 000000008310: 0B4D4CFA FF015211
	v_mul_f32_dpp v167, v17, v167 row_newbcast:3 row_mask:0xf bank_mask:0xf// 000000008318: 0B4F4EFA FF015311
	v_cvt_f32_i32_e32 v168, v168                               // 000000008320: 7F500BA8
	v_cvt_f32_i32_e32 v169, v169                               // 000000008324: 7F520BA9
	v_cvt_f32_i32_e32 v170, v170                               // 000000008328: 7F540BAA
	v_cvt_f32_i32_e32 v171, v171                               // 00000000832C: 7F560BAB
	v_mul_f32_e32 v168, v14, v168                              // 000000008330: 0B51510E
	v_mul_f32_e32 v169, v14, v169                              // 000000008334: 0B53530E
	v_mul_f32_e32 v170, v14, v170                              // 000000008338: 0B55550E
	v_mul_f32_e32 v171, v14, v171                              // 00000000833C: 0B57570E
	v_mul_f32_dpp v168, v17, v168 row_newbcast:4 row_mask:0xf bank_mask:0xf// 000000008340: 0B5150FA FF015411
	v_mul_f32_dpp v169, v17, v169 row_newbcast:5 row_mask:0xf bank_mask:0xf// 000000008348: 0B5352FA FF015511
	v_mul_f32_dpp v170, v17, v170 row_newbcast:6 row_mask:0xf bank_mask:0xf// 000000008350: 0B5554FA FF015611
	v_mul_f32_dpp v171, v17, v171 row_newbcast:7 row_mask:0xf bank_mask:0xf// 000000008358: 0B5756FA FF015711
	v_cvt_f32_i32_e32 v172, v172                               // 000000008360: 7F580BAC
	v_cvt_f32_i32_e32 v173, v173                               // 000000008364: 7F5A0BAD
	v_cvt_f32_i32_e32 v174, v174                               // 000000008368: 7F5C0BAE
	v_cvt_f32_i32_e32 v175, v175                               // 00000000836C: 7F5E0BAF
	v_mul_f32_e32 v172, v15, v172                              // 000000008370: 0B59590F
	v_mul_f32_e32 v173, v15, v173                              // 000000008374: 0B5B5B0F
	v_mul_f32_e32 v174, v15, v174                              // 000000008378: 0B5D5D0F
	v_mul_f32_e32 v175, v15, v175                              // 00000000837C: 0B5F5F0F
	v_mul_f32_dpp v172, v17, v172 row_newbcast:4 row_mask:0xf bank_mask:0xf// 000000008380: 0B5958FA FF015411
	v_mul_f32_dpp v173, v17, v173 row_newbcast:5 row_mask:0xf bank_mask:0xf// 000000008388: 0B5B5AFA FF015511
	v_mul_f32_dpp v174, v17, v174 row_newbcast:6 row_mask:0xf bank_mask:0xf// 000000008390: 0B5D5CFA FF015611
	v_mul_f32_dpp v175, v17, v175 row_newbcast:7 row_mask:0xf bank_mask:0xf// 000000008398: 0B5F5EFA FF015711
	v_cvt_f32_i32_e32 v176, v176                               // 0000000083A0: 7F600BB0
	v_cvt_f32_i32_e32 v177, v177                               // 0000000083A4: 7F620BB1
	v_cvt_f32_i32_e32 v178, v178                               // 0000000083A8: 7F640BB2
	v_cvt_f32_i32_e32 v179, v179                               // 0000000083AC: 7F660BB3
	v_mul_f32_e32 v176, v14, v176                              // 0000000083B0: 0B61610E
	v_mul_f32_e32 v177, v14, v177                              // 0000000083B4: 0B63630E
	v_mul_f32_e32 v178, v14, v178                              // 0000000083B8: 0B65650E
	v_mul_f32_e32 v179, v14, v179                              // 0000000083BC: 0B67670E
	v_mul_f32_dpp v176, v17, v176 row_newbcast:8 row_mask:0xf bank_mask:0xf// 0000000083C0: 0B6160FA FF015811
	v_mul_f32_dpp v177, v17, v177 row_newbcast:9 row_mask:0xf bank_mask:0xf// 0000000083C8: 0B6362FA FF015911
	v_mul_f32_dpp v178, v17, v178 row_newbcast:10 row_mask:0xf bank_mask:0xf// 0000000083D0: 0B6564FA FF015A11
	v_mul_f32_dpp v179, v17, v179 row_newbcast:11 row_mask:0xf bank_mask:0xf// 0000000083D8: 0B6766FA FF015B11
	v_cvt_f32_i32_e32 v180, v180                               // 0000000083E0: 7F680BB4
	v_cvt_f32_i32_e32 v181, v181                               // 0000000083E4: 7F6A0BB5
	v_cvt_f32_i32_e32 v182, v182                               // 0000000083E8: 7F6C0BB6
	v_cvt_f32_i32_e32 v183, v183                               // 0000000083EC: 7F6E0BB7
	v_mul_f32_e32 v180, v15, v180                              // 0000000083F0: 0B69690F
	v_mul_f32_e32 v181, v15, v181                              // 0000000083F4: 0B6B6B0F
	v_mul_f32_e32 v182, v15, v182                              // 0000000083F8: 0B6D6D0F
	v_mul_f32_e32 v183, v15, v183                              // 0000000083FC: 0B6F6F0F
	v_mul_f32_dpp v180, v17, v180 row_newbcast:8 row_mask:0xf bank_mask:0xf// 000000008400: 0B6968FA FF015811
	v_mul_f32_dpp v181, v17, v181 row_newbcast:9 row_mask:0xf bank_mask:0xf// 000000008408: 0B6B6AFA FF015911
	v_mul_f32_dpp v182, v17, v182 row_newbcast:10 row_mask:0xf bank_mask:0xf// 000000008410: 0B6D6CFA FF015A11
	v_mul_f32_dpp v183, v17, v183 row_newbcast:11 row_mask:0xf bank_mask:0xf// 000000008418: 0B6F6EFA FF015B11
	v_cvt_f32_i32_e32 v184, v184                               // 000000008420: 7F700BB8
	v_cvt_f32_i32_e32 v185, v185                               // 000000008424: 7F720BB9
	v_cvt_f32_i32_e32 v186, v186                               // 000000008428: 7F740BBA
	v_cvt_f32_i32_e32 v187, v187                               // 00000000842C: 7F760BBB
	v_mul_f32_e32 v184, v14, v184                              // 000000008430: 0B71710E
	v_mul_f32_e32 v185, v14, v185                              // 000000008434: 0B73730E
	v_mul_f32_e32 v186, v14, v186                              // 000000008438: 0B75750E
	v_mul_f32_e32 v187, v14, v187                              // 00000000843C: 0B77770E
	v_mul_f32_dpp v184, v17, v184 row_newbcast:12 row_mask:0xf bank_mask:0xf// 000000008440: 0B7170FA FF015C11
	v_mul_f32_dpp v185, v17, v185 row_newbcast:13 row_mask:0xf bank_mask:0xf// 000000008448: 0B7372FA FF015D11
	v_mul_f32_dpp v186, v17, v186 row_newbcast:14 row_mask:0xf bank_mask:0xf// 000000008450: 0B7574FA FF015E11
	v_mul_f32_dpp v187, v17, v187 row_newbcast:15 row_mask:0xf bank_mask:0xf// 000000008458: 0B7776FA FF015F11
	v_cvt_f32_i32_e32 v188, v188                               // 000000008460: 7F780BBC
	v_cvt_f32_i32_e32 v189, v189                               // 000000008464: 7F7A0BBD
	v_cvt_f32_i32_e32 v190, v190                               // 000000008468: 7F7C0BBE
	v_cvt_f32_i32_e32 v191, v191                               // 00000000846C: 7F7E0BBF
	v_mul_f32_e32 v188, v15, v188                              // 000000008470: 0B79790F
	v_mul_f32_e32 v189, v15, v189                              // 000000008474: 0B7B7B0F
	v_mul_f32_e32 v190, v15, v190                              // 000000008478: 0B7D7D0F
	v_mul_f32_e32 v191, v15, v191                              // 00000000847C: 0B7F7F0F
	v_mul_f32_dpp v188, v17, v188 row_newbcast:12 row_mask:0xf bank_mask:0xf// 000000008480: 0B7978FA FF015C11
	v_mul_f32_dpp v189, v17, v189 row_newbcast:13 row_mask:0xf bank_mask:0xf// 000000008488: 0B7B7AFA FF015D11
	v_mul_f32_dpp v190, v17, v190 row_newbcast:14 row_mask:0xf bank_mask:0xf// 000000008490: 0B7D7CFA FF015E11
	v_mul_f32_dpp v191, v17, v191 row_newbcast:15 row_mask:0xf bank_mask:0xf// 000000008498: 0B7F7EFA FF015F11
	s_waitcnt vmcnt(28)                                        // 0000000084A0: BF8C4F7C
	buffer_load_dwordx4 a[0:3], v42, s[12:15], 0 offen         // 0000000084A4: E05C1000 8083002A
	v_mul_f32_e32 v50, v128, v128                              // 0000000084AC: 0A650180
	v_mul_f32_e32 v51, v129, v129                              // 0000000084B0: 0A670381
	v_mul_f32_e32 v52, v130, v130                              // 0000000084B4: 0A690582
	v_mul_f32_e32 v53, v131, v131                              // 0000000084B8: 0A6B0783
	v_fma_f32 v50, v50, s77, v1                                // 0000000084BC: D1CB0032 04049B32
	v_fma_f32 v51, v51, s77, v1                                // 0000000084C4: D1CB0033 04049B33
	v_fma_f32 v52, v52, s77, v1                                // 0000000084CC: D1CB0034 04049B34
	v_fma_f32 v53, v53, s77, v1                                // 0000000084D4: D1CB0035 04049B35
	v_mul_f32_e32 v50, v50, v128                               // 0000000084DC: 0A650132
	v_mul_f32_e32 v51, v51, v129                               // 0000000084E0: 0A670333
	v_mul_f32_e32 v52, v52, v130                               // 0000000084E4: 0A690534
	v_mul_f32_e32 v53, v53, v131                               // 0000000084E8: 0A6B0735
	v_mul_f32_e64 v50, v50, s6                                 // 0000000084EC: D1050032 00000D32
	v_mul_f32_e64 v51, v51, s6                                 // 0000000084F4: D1050033 00000D33
	v_mul_f32_e64 v52, v52, s6                                 // 0000000084FC: D1050034 00000D34
	v_mul_f32_e64 v53, v53, s6                                 // 000000008504: D1050035 00000D35
	v_exp_f32_e32 v50, v50                                     // 00000000850C: 7E644132
	v_exp_f32_e32 v51, v51                                     // 000000008510: 7E664133
	v_exp_f32_e32 v52, v52                                     // 000000008514: 7E684134
	v_exp_f32_e32 v53, v53                                     // 000000008518: 7E6A4135
	buffer_load_dwordx4 a[4:7], v43, s[12:15], 0 offen         // 00000000851C: E05C1000 8083042B
	v_add_f32_e64 v50, v50, 1.0                                // 000000008524: D1010032 0001E532
	v_add_f32_e64 v51, v51, 1.0                                // 00000000852C: D1010033 0001E533
	v_add_f32_e64 v52, v52, 1.0                                // 000000008534: D1010034 0001E534
	v_add_f32_e64 v53, v53, 1.0                                // 00000000853C: D1010035 0001E535
	v_rcp_f32_e32 v50, v50                                     // 000000008544: 7E644532
	v_rcp_f32_e32 v51, v51                                     // 000000008548: 7E664533
	v_rcp_f32_e32 v52, v52                                     // 00000000854C: 7E684534
	v_rcp_f32_e32 v53, v53                                     // 000000008550: 7E6A4535
	v_mul_f32_e32 v128, v128, v50                              // 000000008554: 0B006580
	v_mul_f32_e32 v129, v129, v51                              // 000000008558: 0B026781
	v_mul_f32_e32 v130, v130, v52                              // 00000000855C: 0B046982
	v_mul_f32_e32 v131, v131, v53                              // 000000008560: 0B066B83
	buffer_load_dwordx4 a[8:11], v44, s[12:15], 0 offen        // 000000008564: E05C1000 8083082C
	v_mul_f32_e32 v50, v132, v132                              // 00000000856C: 0A650984
	v_mul_f32_e32 v51, v133, v133                              // 000000008570: 0A670B85
	v_mul_f32_e32 v52, v134, v134                              // 000000008574: 0A690D86
	v_mul_f32_e32 v53, v135, v135                              // 000000008578: 0A6B0F87
	v_fma_f32 v50, v50, s77, v1                                // 00000000857C: D1CB0032 04049B32
	v_fma_f32 v51, v51, s77, v1                                // 000000008584: D1CB0033 04049B33
	v_fma_f32 v52, v52, s77, v1                                // 00000000858C: D1CB0034 04049B34
	v_fma_f32 v53, v53, s77, v1                                // 000000008594: D1CB0035 04049B35
	v_mul_f32_e32 v50, v50, v132                               // 00000000859C: 0A650932
	v_mul_f32_e32 v51, v51, v133                               // 0000000085A0: 0A670B33
	v_mul_f32_e32 v52, v52, v134                               // 0000000085A4: 0A690D34
	v_mul_f32_e32 v53, v53, v135                               // 0000000085A8: 0A6B0F35
	v_mul_f32_e64 v50, v50, s6                                 // 0000000085AC: D1050032 00000D32
	v_mul_f32_e64 v51, v51, s6                                 // 0000000085B4: D1050033 00000D33
	v_mul_f32_e64 v52, v52, s6                                 // 0000000085BC: D1050034 00000D34
	v_mul_f32_e64 v53, v53, s6                                 // 0000000085C4: D1050035 00000D35
	v_exp_f32_e32 v50, v50                                     // 0000000085CC: 7E644132
	v_exp_f32_e32 v51, v51                                     // 0000000085D0: 7E664133
	v_exp_f32_e32 v52, v52                                     // 0000000085D4: 7E684134
	v_exp_f32_e32 v53, v53                                     // 0000000085D8: 7E6A4135
	buffer_load_dwordx4 a[12:15], v45, s[12:15], 0 offen       // 0000000085DC: E05C1000 80830C2D
	s_add_u32 s12, s78, s12                                    // 0000000085E4: 800C0C4E
	s_addc_u32 s13, 0, s13                                     // 0000000085E8: 820D0D80
	v_add_f32_e64 v50, v50, 1.0                                // 0000000085EC: D1010032 0001E532
	v_add_f32_e64 v51, v51, 1.0                                // 0000000085F4: D1010033 0001E533
	v_add_f32_e64 v52, v52, 1.0                                // 0000000085FC: D1010034 0001E534
	v_add_f32_e64 v53, v53, 1.0                                // 000000008604: D1010035 0001E535
	v_rcp_f32_e32 v50, v50                                     // 00000000860C: 7E644532
	v_rcp_f32_e32 v51, v51                                     // 000000008610: 7E664533
	v_rcp_f32_e32 v52, v52                                     // 000000008614: 7E684534
	v_rcp_f32_e32 v53, v53                                     // 000000008618: 7E6A4535
	v_mul_f32_e32 v132, v132, v50                              // 00000000861C: 0B086584
	v_mul_f32_e32 v133, v133, v51                              // 000000008620: 0B0A6785
	v_mul_f32_e32 v134, v134, v52                              // 000000008624: 0B0C6986
	v_mul_f32_e32 v135, v135, v53                              // 000000008628: 0B0E6B87
	s_waitcnt vmcnt(28)                                        // 00000000862C: BF8C4F7C
	buffer_load_dwordx4 a[16:19], v42, s[12:15], 0 offen       // 000000008630: E05C1000 8083102A
	v_mul_f32_e32 v50, v136, v136                              // 000000008638: 0A651188
	v_mul_f32_e32 v51, v137, v137                              // 00000000863C: 0A671389
	v_mul_f32_e32 v52, v138, v138                              // 000000008640: 0A69158A
	v_mul_f32_e32 v53, v139, v139                              // 000000008644: 0A6B178B
	v_fma_f32 v50, v50, s77, v1                                // 000000008648: D1CB0032 04049B32
	v_fma_f32 v51, v51, s77, v1                                // 000000008650: D1CB0033 04049B33
	v_fma_f32 v52, v52, s77, v1                                // 000000008658: D1CB0034 04049B34
	v_fma_f32 v53, v53, s77, v1                                // 000000008660: D1CB0035 04049B35
	v_mul_f32_e32 v50, v50, v136                               // 000000008668: 0A651132
	v_mul_f32_e32 v51, v51, v137                               // 00000000866C: 0A671333
	v_mul_f32_e32 v52, v52, v138                               // 000000008670: 0A691534
	v_mul_f32_e32 v53, v53, v139                               // 000000008674: 0A6B1735
	v_mul_f32_e64 v50, v50, s6                                 // 000000008678: D1050032 00000D32
	v_mul_f32_e64 v51, v51, s6                                 // 000000008680: D1050033 00000D33
	v_mul_f32_e64 v52, v52, s6                                 // 000000008688: D1050034 00000D34
	v_mul_f32_e64 v53, v53, s6                                 // 000000008690: D1050035 00000D35
	v_exp_f32_e32 v50, v50                                     // 000000008698: 7E644132
	v_exp_f32_e32 v51, v51                                     // 00000000869C: 7E664133
	v_exp_f32_e32 v52, v52                                     // 0000000086A0: 7E684134
	v_exp_f32_e32 v53, v53                                     // 0000000086A4: 7E6A4135
	buffer_load_dwordx4 a[20:23], v43, s[12:15], 0 offen       // 0000000086A8: E05C1000 8083142B
	v_add_f32_e64 v50, v50, 1.0                                // 0000000086B0: D1010032 0001E532
	v_add_f32_e64 v51, v51, 1.0                                // 0000000086B8: D1010033 0001E533
	v_add_f32_e64 v52, v52, 1.0                                // 0000000086C0: D1010034 0001E534
	v_add_f32_e64 v53, v53, 1.0                                // 0000000086C8: D1010035 0001E535
	v_rcp_f32_e32 v50, v50                                     // 0000000086D0: 7E644532
	v_rcp_f32_e32 v51, v51                                     // 0000000086D4: 7E664533
	v_rcp_f32_e32 v52, v52                                     // 0000000086D8: 7E684534
	v_rcp_f32_e32 v53, v53                                     // 0000000086DC: 7E6A4535
	v_mul_f32_e32 v136, v136, v50                              // 0000000086E0: 0B106588
	v_mul_f32_e32 v137, v137, v51                              // 0000000086E4: 0B126789
	v_mul_f32_e32 v138, v138, v52                              // 0000000086E8: 0B14698A
	v_mul_f32_e32 v139, v139, v53                              // 0000000086EC: 0B166B8B
	buffer_load_dwordx4 a[24:27], v44, s[12:15], 0 offen       // 0000000086F0: E05C1000 8083182C
	v_mul_f32_e32 v50, v140, v140                              // 0000000086F8: 0A65198C
	v_mul_f32_e32 v51, v141, v141                              // 0000000086FC: 0A671B8D
	v_mul_f32_e32 v52, v142, v142                              // 000000008700: 0A691D8E
	v_mul_f32_e32 v53, v143, v143                              // 000000008704: 0A6B1F8F
	v_fma_f32 v50, v50, s77, v1                                // 000000008708: D1CB0032 04049B32
	v_fma_f32 v51, v51, s77, v1                                // 000000008710: D1CB0033 04049B33
	v_fma_f32 v52, v52, s77, v1                                // 000000008718: D1CB0034 04049B34
	v_fma_f32 v53, v53, s77, v1                                // 000000008720: D1CB0035 04049B35
	v_mul_f32_e32 v50, v50, v140                               // 000000008728: 0A651932
	v_mul_f32_e32 v51, v51, v141                               // 00000000872C: 0A671B33
	v_mul_f32_e32 v52, v52, v142                               // 000000008730: 0A691D34
	v_mul_f32_e32 v53, v53, v143                               // 000000008734: 0A6B1F35
	v_mul_f32_e64 v50, v50, s6                                 // 000000008738: D1050032 00000D32
	v_mul_f32_e64 v51, v51, s6                                 // 000000008740: D1050033 00000D33
	v_mul_f32_e64 v52, v52, s6                                 // 000000008748: D1050034 00000D34
	v_mul_f32_e64 v53, v53, s6                                 // 000000008750: D1050035 00000D35
	v_exp_f32_e32 v50, v50                                     // 000000008758: 7E644132
	v_exp_f32_e32 v51, v51                                     // 00000000875C: 7E664133
	v_exp_f32_e32 v52, v52                                     // 000000008760: 7E684134
	v_exp_f32_e32 v53, v53                                     // 000000008764: 7E6A4135
	buffer_load_dwordx4 a[28:31], v45, s[12:15], 0 offen       // 000000008768: E05C1000 80831C2D
	s_add_u32 s12, s78, s12                                    // 000000008770: 800C0C4E
	s_addc_u32 s13, 0, s13                                     // 000000008774: 820D0D80
	v_add_f32_e64 v50, v50, 1.0                                // 000000008778: D1010032 0001E532
	v_add_f32_e64 v51, v51, 1.0                                // 000000008780: D1010033 0001E533
	v_add_f32_e64 v52, v52, 1.0                                // 000000008788: D1010034 0001E534
	v_add_f32_e64 v53, v53, 1.0                                // 000000008790: D1010035 0001E535
	v_rcp_f32_e32 v50, v50                                     // 000000008798: 7E644532
	v_rcp_f32_e32 v51, v51                                     // 00000000879C: 7E664533
	v_rcp_f32_e32 v52, v52                                     // 0000000087A0: 7E684534
	v_rcp_f32_e32 v53, v53                                     // 0000000087A4: 7E6A4535
	v_mul_f32_e32 v140, v140, v50                              // 0000000087A8: 0B18658C
	v_mul_f32_e32 v141, v141, v51                              // 0000000087AC: 0B1A678D
	v_mul_f32_e32 v142, v142, v52                              // 0000000087B0: 0B1C698E
	v_mul_f32_e32 v143, v143, v53                              // 0000000087B4: 0B1E6B8F
	s_waitcnt vmcnt(28)                                        // 0000000087B8: BF8C4F7C
	buffer_load_dwordx4 a[32:35], v42, s[12:15], 0 offen       // 0000000087BC: E05C1000 8083202A
	v_mul_f32_e32 v50, v144, v144                              // 0000000087C4: 0A652190
	v_mul_f32_e32 v51, v145, v145                              // 0000000087C8: 0A672391
	v_mul_f32_e32 v52, v146, v146                              // 0000000087CC: 0A692592
	v_mul_f32_e32 v53, v147, v147                              // 0000000087D0: 0A6B2793
	v_fma_f32 v50, v50, s77, v1                                // 0000000087D4: D1CB0032 04049B32
	v_fma_f32 v51, v51, s77, v1                                // 0000000087DC: D1CB0033 04049B33
	v_fma_f32 v52, v52, s77, v1                                // 0000000087E4: D1CB0034 04049B34
	v_fma_f32 v53, v53, s77, v1                                // 0000000087EC: D1CB0035 04049B35
	v_mul_f32_e32 v50, v50, v144                               // 0000000087F4: 0A652132
	v_mul_f32_e32 v51, v51, v145                               // 0000000087F8: 0A672333
	v_mul_f32_e32 v52, v52, v146                               // 0000000087FC: 0A692534
	v_mul_f32_e32 v53, v53, v147                               // 000000008800: 0A6B2735
	v_mul_f32_e64 v50, v50, s6                                 // 000000008804: D1050032 00000D32
	v_mul_f32_e64 v51, v51, s6                                 // 00000000880C: D1050033 00000D33
	v_mul_f32_e64 v52, v52, s6                                 // 000000008814: D1050034 00000D34
	v_mul_f32_e64 v53, v53, s6                                 // 00000000881C: D1050035 00000D35
	v_exp_f32_e32 v50, v50                                     // 000000008824: 7E644132
	v_exp_f32_e32 v51, v51                                     // 000000008828: 7E664133
	v_exp_f32_e32 v52, v52                                     // 00000000882C: 7E684134
	v_exp_f32_e32 v53, v53                                     // 000000008830: 7E6A4135
	buffer_load_dwordx4 a[36:39], v43, s[12:15], 0 offen       // 000000008834: E05C1000 8083242B
	v_add_f32_e64 v50, v50, 1.0                                // 00000000883C: D1010032 0001E532
	v_add_f32_e64 v51, v51, 1.0                                // 000000008844: D1010033 0001E533
	v_add_f32_e64 v52, v52, 1.0                                // 00000000884C: D1010034 0001E534
	v_add_f32_e64 v53, v53, 1.0                                // 000000008854: D1010035 0001E535
	v_rcp_f32_e32 v50, v50                                     // 00000000885C: 7E644532
	v_rcp_f32_e32 v51, v51                                     // 000000008860: 7E664533
	v_rcp_f32_e32 v52, v52                                     // 000000008864: 7E684534
	v_rcp_f32_e32 v53, v53                                     // 000000008868: 7E6A4535
	v_mul_f32_e32 v144, v144, v50                              // 00000000886C: 0B206590
	v_mul_f32_e32 v145, v145, v51                              // 000000008870: 0B226791
	v_mul_f32_e32 v146, v146, v52                              // 000000008874: 0B246992
	v_mul_f32_e32 v147, v147, v53                              // 000000008878: 0B266B93
	buffer_load_dwordx4 a[40:43], v44, s[12:15], 0 offen       // 00000000887C: E05C1000 8083282C
	v_mul_f32_e32 v50, v148, v148                              // 000000008884: 0A652994
	v_mul_f32_e32 v51, v149, v149                              // 000000008888: 0A672B95
	v_mul_f32_e32 v52, v150, v150                              // 00000000888C: 0A692D96
	v_mul_f32_e32 v53, v151, v151                              // 000000008890: 0A6B2F97
	v_fma_f32 v50, v50, s77, v1                                // 000000008894: D1CB0032 04049B32
	v_fma_f32 v51, v51, s77, v1                                // 00000000889C: D1CB0033 04049B33
	v_fma_f32 v52, v52, s77, v1                                // 0000000088A4: D1CB0034 04049B34
	v_fma_f32 v53, v53, s77, v1                                // 0000000088AC: D1CB0035 04049B35
	v_mul_f32_e32 v50, v50, v148                               // 0000000088B4: 0A652932
	v_mul_f32_e32 v51, v51, v149                               // 0000000088B8: 0A672B33
	v_mul_f32_e32 v52, v52, v150                               // 0000000088BC: 0A692D34
	v_mul_f32_e32 v53, v53, v151                               // 0000000088C0: 0A6B2F35
	v_mul_f32_e64 v50, v50, s6                                 // 0000000088C4: D1050032 00000D32
	v_mul_f32_e64 v51, v51, s6                                 // 0000000088CC: D1050033 00000D33
	v_mul_f32_e64 v52, v52, s6                                 // 0000000088D4: D1050034 00000D34
	v_mul_f32_e64 v53, v53, s6                                 // 0000000088DC: D1050035 00000D35
	v_exp_f32_e32 v50, v50                                     // 0000000088E4: 7E644132
	v_exp_f32_e32 v51, v51                                     // 0000000088E8: 7E664133
	v_exp_f32_e32 v52, v52                                     // 0000000088EC: 7E684134
	v_exp_f32_e32 v53, v53                                     // 0000000088F0: 7E6A4135
	buffer_load_dwordx4 a[44:47], v45, s[12:15], 0 offen       // 0000000088F4: E05C1000 80832C2D
	s_add_u32 s12, s78, s12                                    // 0000000088FC: 800C0C4E
	s_addc_u32 s13, 0, s13                                     // 000000008900: 820D0D80
	v_add_f32_e64 v50, v50, 1.0                                // 000000008904: D1010032 0001E532
	v_add_f32_e64 v51, v51, 1.0                                // 00000000890C: D1010033 0001E533
	v_add_f32_e64 v52, v52, 1.0                                // 000000008914: D1010034 0001E534
	v_add_f32_e64 v53, v53, 1.0                                // 00000000891C: D1010035 0001E535
	v_rcp_f32_e32 v50, v50                                     // 000000008924: 7E644532
	v_rcp_f32_e32 v51, v51                                     // 000000008928: 7E664533
	v_rcp_f32_e32 v52, v52                                     // 00000000892C: 7E684534
	v_rcp_f32_e32 v53, v53                                     // 000000008930: 7E6A4535
	v_mul_f32_e32 v148, v148, v50                              // 000000008934: 0B286594
	v_mul_f32_e32 v149, v149, v51                              // 000000008938: 0B2A6795
	v_mul_f32_e32 v150, v150, v52                              // 00000000893C: 0B2C6996
	v_mul_f32_e32 v151, v151, v53                              // 000000008940: 0B2E6B97
	s_waitcnt vmcnt(28)                                        // 000000008944: BF8C4F7C
	buffer_load_dwordx4 a[48:51], v42, s[12:15], 0 offen       // 000000008948: E05C1000 8083302A
	v_mul_f32_e32 v50, v152, v152                              // 000000008950: 0A653198
	v_mul_f32_e32 v51, v153, v153                              // 000000008954: 0A673399
	v_mul_f32_e32 v52, v154, v154                              // 000000008958: 0A69359A
	v_mul_f32_e32 v53, v155, v155                              // 00000000895C: 0A6B379B
	v_fma_f32 v50, v50, s77, v1                                // 000000008960: D1CB0032 04049B32
	v_fma_f32 v51, v51, s77, v1                                // 000000008968: D1CB0033 04049B33
	v_fma_f32 v52, v52, s77, v1                                // 000000008970: D1CB0034 04049B34
	v_fma_f32 v53, v53, s77, v1                                // 000000008978: D1CB0035 04049B35
	v_mul_f32_e32 v50, v50, v152                               // 000000008980: 0A653132
	v_mul_f32_e32 v51, v51, v153                               // 000000008984: 0A673333
	v_mul_f32_e32 v52, v52, v154                               // 000000008988: 0A693534
	v_mul_f32_e32 v53, v53, v155                               // 00000000898C: 0A6B3735
	v_mul_f32_e64 v50, v50, s6                                 // 000000008990: D1050032 00000D32
	v_mul_f32_e64 v51, v51, s6                                 // 000000008998: D1050033 00000D33
	v_mul_f32_e64 v52, v52, s6                                 // 0000000089A0: D1050034 00000D34
	v_mul_f32_e64 v53, v53, s6                                 // 0000000089A8: D1050035 00000D35
	v_exp_f32_e32 v50, v50                                     // 0000000089B0: 7E644132
	v_exp_f32_e32 v51, v51                                     // 0000000089B4: 7E664133
	v_exp_f32_e32 v52, v52                                     // 0000000089B8: 7E684134
	v_exp_f32_e32 v53, v53                                     // 0000000089BC: 7E6A4135
	buffer_load_dwordx4 a[52:55], v43, s[12:15], 0 offen       // 0000000089C0: E05C1000 8083342B
	v_add_f32_e64 v50, v50, 1.0                                // 0000000089C8: D1010032 0001E532
	v_add_f32_e64 v51, v51, 1.0                                // 0000000089D0: D1010033 0001E533
	v_add_f32_e64 v52, v52, 1.0                                // 0000000089D8: D1010034 0001E534
	v_add_f32_e64 v53, v53, 1.0                                // 0000000089E0: D1010035 0001E535
	v_rcp_f32_e32 v50, v50                                     // 0000000089E8: 7E644532
	v_rcp_f32_e32 v51, v51                                     // 0000000089EC: 7E664533
	v_rcp_f32_e32 v52, v52                                     // 0000000089F0: 7E684534
	v_rcp_f32_e32 v53, v53                                     // 0000000089F4: 7E6A4535
	v_mul_f32_e32 v152, v152, v50                              // 0000000089F8: 0B306598
	v_mul_f32_e32 v153, v153, v51                              // 0000000089FC: 0B326799
	v_mul_f32_e32 v154, v154, v52                              // 000000008A00: 0B34699A
	v_mul_f32_e32 v155, v155, v53                              // 000000008A04: 0B366B9B
	buffer_load_dwordx4 a[56:59], v44, s[12:15], 0 offen       // 000000008A08: E05C1000 8083382C
	v_mul_f32_e32 v50, v156, v156                              // 000000008A10: 0A65399C
	v_mul_f32_e32 v51, v157, v157                              // 000000008A14: 0A673B9D
	v_mul_f32_e32 v52, v158, v158                              // 000000008A18: 0A693D9E
	v_mul_f32_e32 v53, v159, v159                              // 000000008A1C: 0A6B3F9F
	v_fma_f32 v50, v50, s77, v1                                // 000000008A20: D1CB0032 04049B32
	v_fma_f32 v51, v51, s77, v1                                // 000000008A28: D1CB0033 04049B33
	v_fma_f32 v52, v52, s77, v1                                // 000000008A30: D1CB0034 04049B34
	v_fma_f32 v53, v53, s77, v1                                // 000000008A38: D1CB0035 04049B35
	v_mul_f32_e32 v50, v50, v156                               // 000000008A40: 0A653932
	v_mul_f32_e32 v51, v51, v157                               // 000000008A44: 0A673B33
	v_mul_f32_e32 v52, v52, v158                               // 000000008A48: 0A693D34
	v_mul_f32_e32 v53, v53, v159                               // 000000008A4C: 0A6B3F35
	v_mul_f32_e64 v50, v50, s6                                 // 000000008A50: D1050032 00000D32
	v_mul_f32_e64 v51, v51, s6                                 // 000000008A58: D1050033 00000D33
	v_mul_f32_e64 v52, v52, s6                                 // 000000008A60: D1050034 00000D34
	v_mul_f32_e64 v53, v53, s6                                 // 000000008A68: D1050035 00000D35
	v_exp_f32_e32 v50, v50                                     // 000000008A70: 7E644132
	v_exp_f32_e32 v51, v51                                     // 000000008A74: 7E664133
	v_exp_f32_e32 v52, v52                                     // 000000008A78: 7E684134
	v_exp_f32_e32 v53, v53                                     // 000000008A7C: 7E6A4135
	buffer_load_dwordx4 a[60:63], v45, s[12:15], 0 offen       // 000000008A80: E05C1000 80833C2D
	s_add_u32 s12, s78, s12                                    // 000000008A88: 800C0C4E
	s_addc_u32 s13, 0, s13                                     // 000000008A8C: 820D0D80
	v_add_f32_e64 v50, v50, 1.0                                // 000000008A90: D1010032 0001E532
	v_add_f32_e64 v51, v51, 1.0                                // 000000008A98: D1010033 0001E533
	v_add_f32_e64 v52, v52, 1.0                                // 000000008AA0: D1010034 0001E534
	v_add_f32_e64 v53, v53, 1.0                                // 000000008AA8: D1010035 0001E535
	v_rcp_f32_e32 v50, v50                                     // 000000008AB0: 7E644532
	v_rcp_f32_e32 v51, v51                                     // 000000008AB4: 7E664533
	v_rcp_f32_e32 v52, v52                                     // 000000008AB8: 7E684534
	v_rcp_f32_e32 v53, v53                                     // 000000008ABC: 7E6A4535
	v_mul_f32_e32 v156, v156, v50                              // 000000008AC0: 0B38659C
	v_mul_f32_e32 v157, v157, v51                              // 000000008AC4: 0B3A679D
	v_mul_f32_e32 v158, v158, v52                              // 000000008AC8: 0B3C699E
	v_mul_f32_e32 v159, v159, v53                              // 000000008ACC: 0B3E6B9F
	s_waitcnt vmcnt(28)                                        // 000000008AD0: BF8C4F7C
	buffer_load_dwordx4 a[64:67], v42, s[12:15], 0 offen       // 000000008AD4: E05C1000 8083402A
	v_mul_f32_e32 v50, v160, v160                              // 000000008ADC: 0A6541A0
	v_mul_f32_e32 v51, v161, v161                              // 000000008AE0: 0A6743A1
	v_mul_f32_e32 v52, v162, v162                              // 000000008AE4: 0A6945A2
	v_mul_f32_e32 v53, v163, v163                              // 000000008AE8: 0A6B47A3
	v_fma_f32 v50, v50, s77, v1                                // 000000008AEC: D1CB0032 04049B32
	v_fma_f32 v51, v51, s77, v1                                // 000000008AF4: D1CB0033 04049B33
	v_fma_f32 v52, v52, s77, v1                                // 000000008AFC: D1CB0034 04049B34
	v_fma_f32 v53, v53, s77, v1                                // 000000008B04: D1CB0035 04049B35
	v_mul_f32_e32 v50, v50, v160                               // 000000008B0C: 0A654132
	v_mul_f32_e32 v51, v51, v161                               // 000000008B10: 0A674333
	v_mul_f32_e32 v52, v52, v162                               // 000000008B14: 0A694534
	v_mul_f32_e32 v53, v53, v163                               // 000000008B18: 0A6B4735
	v_mul_f32_e64 v50, v50, s6                                 // 000000008B1C: D1050032 00000D32
	v_mul_f32_e64 v51, v51, s6                                 // 000000008B24: D1050033 00000D33
	v_mul_f32_e64 v52, v52, s6                                 // 000000008B2C: D1050034 00000D34
	v_mul_f32_e64 v53, v53, s6                                 // 000000008B34: D1050035 00000D35
	v_exp_f32_e32 v50, v50                                     // 000000008B3C: 7E644132
	v_exp_f32_e32 v51, v51                                     // 000000008B40: 7E664133
	v_exp_f32_e32 v52, v52                                     // 000000008B44: 7E684134
	v_exp_f32_e32 v53, v53                                     // 000000008B48: 7E6A4135
	buffer_load_dwordx4 a[68:71], v43, s[12:15], 0 offen       // 000000008B4C: E05C1000 8083442B
	v_add_f32_e64 v50, v50, 1.0                                // 000000008B54: D1010032 0001E532
	v_add_f32_e64 v51, v51, 1.0                                // 000000008B5C: D1010033 0001E533
	v_add_f32_e64 v52, v52, 1.0                                // 000000008B64: D1010034 0001E534
	v_add_f32_e64 v53, v53, 1.0                                // 000000008B6C: D1010035 0001E535
	v_rcp_f32_e32 v50, v50                                     // 000000008B74: 7E644532
	v_rcp_f32_e32 v51, v51                                     // 000000008B78: 7E664533
	v_rcp_f32_e32 v52, v52                                     // 000000008B7C: 7E684534
	v_rcp_f32_e32 v53, v53                                     // 000000008B80: 7E6A4535
	v_mul_f32_e32 v160, v160, v50                              // 000000008B84: 0B4065A0
	v_mul_f32_e32 v161, v161, v51                              // 000000008B88: 0B4267A1
	v_mul_f32_e32 v162, v162, v52                              // 000000008B8C: 0B4469A2
	v_mul_f32_e32 v163, v163, v53                              // 000000008B90: 0B466BA3
	buffer_load_dwordx4 a[72:75], v44, s[12:15], 0 offen       // 000000008B94: E05C1000 8083482C
	v_mul_f32_e32 v50, v164, v164                              // 000000008B9C: 0A6549A4
	v_mul_f32_e32 v51, v165, v165                              // 000000008BA0: 0A674BA5
	v_mul_f32_e32 v52, v166, v166                              // 000000008BA4: 0A694DA6
	v_mul_f32_e32 v53, v167, v167                              // 000000008BA8: 0A6B4FA7
	v_fma_f32 v50, v50, s77, v1                                // 000000008BAC: D1CB0032 04049B32
	v_fma_f32 v51, v51, s77, v1                                // 000000008BB4: D1CB0033 04049B33
	v_fma_f32 v52, v52, s77, v1                                // 000000008BBC: D1CB0034 04049B34
	v_fma_f32 v53, v53, s77, v1                                // 000000008BC4: D1CB0035 04049B35
	v_mul_f32_e32 v50, v50, v164                               // 000000008BCC: 0A654932
	v_mul_f32_e32 v51, v51, v165                               // 000000008BD0: 0A674B33
	v_mul_f32_e32 v52, v52, v166                               // 000000008BD4: 0A694D34
	v_mul_f32_e32 v53, v53, v167                               // 000000008BD8: 0A6B4F35
	v_mul_f32_e64 v50, v50, s6                                 // 000000008BDC: D1050032 00000D32
	v_mul_f32_e64 v51, v51, s6                                 // 000000008BE4: D1050033 00000D33
	v_mul_f32_e64 v52, v52, s6                                 // 000000008BEC: D1050034 00000D34
	v_mul_f32_e64 v53, v53, s6                                 // 000000008BF4: D1050035 00000D35
	v_exp_f32_e32 v50, v50                                     // 000000008BFC: 7E644132
	v_exp_f32_e32 v51, v51                                     // 000000008C00: 7E664133
	v_exp_f32_e32 v52, v52                                     // 000000008C04: 7E684134
	v_exp_f32_e32 v53, v53                                     // 000000008C08: 7E6A4135
	buffer_load_dwordx4 a[76:79], v45, s[12:15], 0 offen       // 000000008C0C: E05C1000 80834C2D
	s_add_u32 s12, s78, s12                                    // 000000008C14: 800C0C4E
	s_addc_u32 s13, 0, s13                                     // 000000008C18: 820D0D80
	v_add_f32_e64 v50, v50, 1.0                                // 000000008C1C: D1010032 0001E532
	v_add_f32_e64 v51, v51, 1.0                                // 000000008C24: D1010033 0001E533
	v_add_f32_e64 v52, v52, 1.0                                // 000000008C2C: D1010034 0001E534
	v_add_f32_e64 v53, v53, 1.0                                // 000000008C34: D1010035 0001E535
	v_rcp_f32_e32 v50, v50                                     // 000000008C3C: 7E644532
	v_rcp_f32_e32 v51, v51                                     // 000000008C40: 7E664533
	v_rcp_f32_e32 v52, v52                                     // 000000008C44: 7E684534
	v_rcp_f32_e32 v53, v53                                     // 000000008C48: 7E6A4535
	v_mul_f32_e32 v164, v164, v50                              // 000000008C4C: 0B4865A4
	v_mul_f32_e32 v165, v165, v51                              // 000000008C50: 0B4A67A5
	v_mul_f32_e32 v166, v166, v52                              // 000000008C54: 0B4C69A6
	v_mul_f32_e32 v167, v167, v53                              // 000000008C58: 0B4E6BA7
	s_waitcnt vmcnt(28)                                        // 000000008C5C: BF8C4F7C
	buffer_load_dwordx4 a[80:83], v42, s[12:15], 0 offen       // 000000008C60: E05C1000 8083502A
	v_mul_f32_e32 v50, v168, v168                              // 000000008C68: 0A6551A8
	v_mul_f32_e32 v51, v169, v169                              // 000000008C6C: 0A6753A9
	v_mul_f32_e32 v52, v170, v170                              // 000000008C70: 0A6955AA
	v_mul_f32_e32 v53, v171, v171                              // 000000008C74: 0A6B57AB
	v_fma_f32 v50, v50, s77, v1                                // 000000008C78: D1CB0032 04049B32
	v_fma_f32 v51, v51, s77, v1                                // 000000008C80: D1CB0033 04049B33
	v_fma_f32 v52, v52, s77, v1                                // 000000008C88: D1CB0034 04049B34
	v_fma_f32 v53, v53, s77, v1                                // 000000008C90: D1CB0035 04049B35
	v_mul_f32_e32 v50, v50, v168                               // 000000008C98: 0A655132
	v_mul_f32_e32 v51, v51, v169                               // 000000008C9C: 0A675333
	v_mul_f32_e32 v52, v52, v170                               // 000000008CA0: 0A695534
	v_mul_f32_e32 v53, v53, v171                               // 000000008CA4: 0A6B5735
	v_mul_f32_e64 v50, v50, s6                                 // 000000008CA8: D1050032 00000D32
	v_mul_f32_e64 v51, v51, s6                                 // 000000008CB0: D1050033 00000D33
	v_mul_f32_e64 v52, v52, s6                                 // 000000008CB8: D1050034 00000D34
	v_mul_f32_e64 v53, v53, s6                                 // 000000008CC0: D1050035 00000D35
	v_exp_f32_e32 v50, v50                                     // 000000008CC8: 7E644132
	v_exp_f32_e32 v51, v51                                     // 000000008CCC: 7E664133
	v_exp_f32_e32 v52, v52                                     // 000000008CD0: 7E684134
	v_exp_f32_e32 v53, v53                                     // 000000008CD4: 7E6A4135
	buffer_load_dwordx4 a[84:87], v43, s[12:15], 0 offen       // 000000008CD8: E05C1000 8083542B
	v_add_f32_e64 v50, v50, 1.0                                // 000000008CE0: D1010032 0001E532
	v_add_f32_e64 v51, v51, 1.0                                // 000000008CE8: D1010033 0001E533
	v_add_f32_e64 v52, v52, 1.0                                // 000000008CF0: D1010034 0001E534
	v_add_f32_e64 v53, v53, 1.0                                // 000000008CF8: D1010035 0001E535
	v_rcp_f32_e32 v50, v50                                     // 000000008D00: 7E644532
	v_rcp_f32_e32 v51, v51                                     // 000000008D04: 7E664533
	v_rcp_f32_e32 v52, v52                                     // 000000008D08: 7E684534
	v_rcp_f32_e32 v53, v53                                     // 000000008D0C: 7E6A4535
	v_mul_f32_e32 v168, v168, v50                              // 000000008D10: 0B5065A8
	v_mul_f32_e32 v169, v169, v51                              // 000000008D14: 0B5267A9
	v_mul_f32_e32 v170, v170, v52                              // 000000008D18: 0B5469AA
	v_mul_f32_e32 v171, v171, v53                              // 000000008D1C: 0B566BAB
	buffer_load_dwordx4 a[88:91], v44, s[12:15], 0 offen       // 000000008D20: E05C1000 8083582C
	v_mul_f32_e32 v50, v172, v172                              // 000000008D28: 0A6559AC
	v_mul_f32_e32 v51, v173, v173                              // 000000008D2C: 0A675BAD
	v_mul_f32_e32 v52, v174, v174                              // 000000008D30: 0A695DAE
	v_mul_f32_e32 v53, v175, v175                              // 000000008D34: 0A6B5FAF
	v_fma_f32 v50, v50, s77, v1                                // 000000008D38: D1CB0032 04049B32
	v_fma_f32 v51, v51, s77, v1                                // 000000008D40: D1CB0033 04049B33
	v_fma_f32 v52, v52, s77, v1                                // 000000008D48: D1CB0034 04049B34
	v_fma_f32 v53, v53, s77, v1                                // 000000008D50: D1CB0035 04049B35
	v_mul_f32_e32 v50, v50, v172                               // 000000008D58: 0A655932
	v_mul_f32_e32 v51, v51, v173                               // 000000008D5C: 0A675B33
	v_mul_f32_e32 v52, v52, v174                               // 000000008D60: 0A695D34
	v_mul_f32_e32 v53, v53, v175                               // 000000008D64: 0A6B5F35
	v_mul_f32_e64 v50, v50, s6                                 // 000000008D68: D1050032 00000D32
	v_mul_f32_e64 v51, v51, s6                                 // 000000008D70: D1050033 00000D33
	v_mul_f32_e64 v52, v52, s6                                 // 000000008D78: D1050034 00000D34
	v_mul_f32_e64 v53, v53, s6                                 // 000000008D80: D1050035 00000D35
	v_exp_f32_e32 v50, v50                                     // 000000008D88: 7E644132
	v_exp_f32_e32 v51, v51                                     // 000000008D8C: 7E664133
	v_exp_f32_e32 v52, v52                                     // 000000008D90: 7E684134
	v_exp_f32_e32 v53, v53                                     // 000000008D94: 7E6A4135
	buffer_load_dwordx4 a[92:95], v45, s[12:15], 0 offen       // 000000008D98: E05C1000 80835C2D
	s_add_u32 s12, s78, s12                                    // 000000008DA0: 800C0C4E
	s_addc_u32 s13, 0, s13                                     // 000000008DA4: 820D0D80
	v_add_f32_e64 v50, v50, 1.0                                // 000000008DA8: D1010032 0001E532
	v_add_f32_e64 v51, v51, 1.0                                // 000000008DB0: D1010033 0001E533
	v_add_f32_e64 v52, v52, 1.0                                // 000000008DB8: D1010034 0001E534
	v_add_f32_e64 v53, v53, 1.0                                // 000000008DC0: D1010035 0001E535
	v_rcp_f32_e32 v50, v50                                     // 000000008DC8: 7E644532
	v_rcp_f32_e32 v51, v51                                     // 000000008DCC: 7E664533
	v_rcp_f32_e32 v52, v52                                     // 000000008DD0: 7E684534
	v_rcp_f32_e32 v53, v53                                     // 000000008DD4: 7E6A4535
	v_mul_f32_e32 v172, v172, v50                              // 000000008DD8: 0B5865AC
	v_mul_f32_e32 v173, v173, v51                              // 000000008DDC: 0B5A67AD
	v_mul_f32_e32 v174, v174, v52                              // 000000008DE0: 0B5C69AE
	v_mul_f32_e32 v175, v175, v53                              // 000000008DE4: 0B5E6BAF
	s_waitcnt vmcnt(28)                                        // 000000008DE8: BF8C4F7C
	buffer_load_dwordx4 a[96:99], v42, s[12:15], 0 offen       // 000000008DEC: E05C1000 8083602A
	v_mul_f32_e32 v50, v176, v176                              // 000000008DF4: 0A6561B0
	v_mul_f32_e32 v51, v177, v177                              // 000000008DF8: 0A6763B1
	v_mul_f32_e32 v52, v178, v178                              // 000000008DFC: 0A6965B2
	v_mul_f32_e32 v53, v179, v179                              // 000000008E00: 0A6B67B3
	v_fma_f32 v50, v50, s77, v1                                // 000000008E04: D1CB0032 04049B32
	v_fma_f32 v51, v51, s77, v1                                // 000000008E0C: D1CB0033 04049B33
	v_fma_f32 v52, v52, s77, v1                                // 000000008E14: D1CB0034 04049B34
	v_fma_f32 v53, v53, s77, v1                                // 000000008E1C: D1CB0035 04049B35
	v_mul_f32_e32 v50, v50, v176                               // 000000008E24: 0A656132
	v_mul_f32_e32 v51, v51, v177                               // 000000008E28: 0A676333
	v_mul_f32_e32 v52, v52, v178                               // 000000008E2C: 0A696534
	v_mul_f32_e32 v53, v53, v179                               // 000000008E30: 0A6B6735
	v_mul_f32_e64 v50, v50, s6                                 // 000000008E34: D1050032 00000D32
	v_mul_f32_e64 v51, v51, s6                                 // 000000008E3C: D1050033 00000D33
	v_mul_f32_e64 v52, v52, s6                                 // 000000008E44: D1050034 00000D34
	v_mul_f32_e64 v53, v53, s6                                 // 000000008E4C: D1050035 00000D35
	v_exp_f32_e32 v50, v50                                     // 000000008E54: 7E644132
	v_exp_f32_e32 v51, v51                                     // 000000008E58: 7E664133
	v_exp_f32_e32 v52, v52                                     // 000000008E5C: 7E684134
	v_exp_f32_e32 v53, v53                                     // 000000008E60: 7E6A4135
	buffer_load_dwordx4 a[100:103], v43, s[12:15], 0 offen     // 000000008E64: E05C1000 8083642B
	v_add_f32_e64 v50, v50, 1.0                                // 000000008E6C: D1010032 0001E532
	v_add_f32_e64 v51, v51, 1.0                                // 000000008E74: D1010033 0001E533
	v_add_f32_e64 v52, v52, 1.0                                // 000000008E7C: D1010034 0001E534
	v_add_f32_e64 v53, v53, 1.0                                // 000000008E84: D1010035 0001E535
	v_rcp_f32_e32 v50, v50                                     // 000000008E8C: 7E644532
	v_rcp_f32_e32 v51, v51                                     // 000000008E90: 7E664533
	v_rcp_f32_e32 v52, v52                                     // 000000008E94: 7E684534
	v_rcp_f32_e32 v53, v53                                     // 000000008E98: 7E6A4535
	v_mul_f32_e32 v176, v176, v50                              // 000000008E9C: 0B6065B0
	v_mul_f32_e32 v177, v177, v51                              // 000000008EA0: 0B6267B1
	v_mul_f32_e32 v178, v178, v52                              // 000000008EA4: 0B6469B2
	v_mul_f32_e32 v179, v179, v53                              // 000000008EA8: 0B666BB3
	buffer_load_dwordx4 a[104:107], v44, s[12:15], 0 offen     // 000000008EAC: E05C1000 8083682C
	v_mul_f32_e32 v50, v180, v180                              // 000000008EB4: 0A6569B4
	v_mul_f32_e32 v51, v181, v181                              // 000000008EB8: 0A676BB5
	v_mul_f32_e32 v52, v182, v182                              // 000000008EBC: 0A696DB6
	v_mul_f32_e32 v53, v183, v183                              // 000000008EC0: 0A6B6FB7
	v_fma_f32 v50, v50, s77, v1                                // 000000008EC4: D1CB0032 04049B32
	v_fma_f32 v51, v51, s77, v1                                // 000000008ECC: D1CB0033 04049B33
	v_fma_f32 v52, v52, s77, v1                                // 000000008ED4: D1CB0034 04049B34
	v_fma_f32 v53, v53, s77, v1                                // 000000008EDC: D1CB0035 04049B35
	v_mul_f32_e32 v50, v50, v180                               // 000000008EE4: 0A656932
	v_mul_f32_e32 v51, v51, v181                               // 000000008EE8: 0A676B33
	v_mul_f32_e32 v52, v52, v182                               // 000000008EEC: 0A696D34
	v_mul_f32_e32 v53, v53, v183                               // 000000008EF0: 0A6B6F35
	v_mul_f32_e64 v50, v50, s6                                 // 000000008EF4: D1050032 00000D32
	v_mul_f32_e64 v51, v51, s6                                 // 000000008EFC: D1050033 00000D33
	v_mul_f32_e64 v52, v52, s6                                 // 000000008F04: D1050034 00000D34
	v_mul_f32_e64 v53, v53, s6                                 // 000000008F0C: D1050035 00000D35
	v_exp_f32_e32 v50, v50                                     // 000000008F14: 7E644132
	v_exp_f32_e32 v51, v51                                     // 000000008F18: 7E664133
	v_exp_f32_e32 v52, v52                                     // 000000008F1C: 7E684134
	v_exp_f32_e32 v53, v53                                     // 000000008F20: 7E6A4135
	buffer_load_dwordx4 a[108:111], v45, s[12:15], 0 offen     // 000000008F24: E05C1000 80836C2D
	s_add_u32 s12, s78, s12                                    // 000000008F2C: 800C0C4E
	s_addc_u32 s13, 0, s13                                     // 000000008F30: 820D0D80
	v_add_f32_e64 v50, v50, 1.0                                // 000000008F34: D1010032 0001E532
	v_add_f32_e64 v51, v51, 1.0                                // 000000008F3C: D1010033 0001E533
	v_add_f32_e64 v52, v52, 1.0                                // 000000008F44: D1010034 0001E534
	v_add_f32_e64 v53, v53, 1.0                                // 000000008F4C: D1010035 0001E535
	v_rcp_f32_e32 v50, v50                                     // 000000008F54: 7E644532
	v_rcp_f32_e32 v51, v51                                     // 000000008F58: 7E664533
	v_rcp_f32_e32 v52, v52                                     // 000000008F5C: 7E684534
	v_rcp_f32_e32 v53, v53                                     // 000000008F60: 7E6A4535
	v_mul_f32_e32 v180, v180, v50                              // 000000008F64: 0B6865B4
	v_mul_f32_e32 v181, v181, v51                              // 000000008F68: 0B6A67B5
	v_mul_f32_e32 v182, v182, v52                              // 000000008F6C: 0B6C69B6
	v_mul_f32_e32 v183, v183, v53                              // 000000008F70: 0B6E6BB7
	s_waitcnt vmcnt(28)                                        // 000000008F74: BF8C4F7C
	buffer_load_dwordx4 a[112:115], v42, s[12:15], 0 offen     // 000000008F78: E05C1000 8083702A
	v_mul_f32_e32 v50, v184, v184                              // 000000008F80: 0A6571B8
	v_mul_f32_e32 v51, v185, v185                              // 000000008F84: 0A6773B9
	v_mul_f32_e32 v52, v186, v186                              // 000000008F88: 0A6975BA
	v_mul_f32_e32 v53, v187, v187                              // 000000008F8C: 0A6B77BB
	v_fma_f32 v50, v50, s77, v1                                // 000000008F90: D1CB0032 04049B32
	v_fma_f32 v51, v51, s77, v1                                // 000000008F98: D1CB0033 04049B33
	v_fma_f32 v52, v52, s77, v1                                // 000000008FA0: D1CB0034 04049B34
	v_fma_f32 v53, v53, s77, v1                                // 000000008FA8: D1CB0035 04049B35
	v_mul_f32_e32 v50, v50, v184                               // 000000008FB0: 0A657132
	v_mul_f32_e32 v51, v51, v185                               // 000000008FB4: 0A677333
	v_mul_f32_e32 v52, v52, v186                               // 000000008FB8: 0A697534
	v_mul_f32_e32 v53, v53, v187                               // 000000008FBC: 0A6B7735
	v_mul_f32_e64 v50, v50, s6                                 // 000000008FC0: D1050032 00000D32
	v_mul_f32_e64 v51, v51, s6                                 // 000000008FC8: D1050033 00000D33
	v_mul_f32_e64 v52, v52, s6                                 // 000000008FD0: D1050034 00000D34
	v_mul_f32_e64 v53, v53, s6                                 // 000000008FD8: D1050035 00000D35
	v_exp_f32_e32 v50, v50                                     // 000000008FE0: 7E644132
	v_exp_f32_e32 v51, v51                                     // 000000008FE4: 7E664133
	v_exp_f32_e32 v52, v52                                     // 000000008FE8: 7E684134
	v_exp_f32_e32 v53, v53                                     // 000000008FEC: 7E6A4135
	buffer_load_dwordx4 a[116:119], v43, s[12:15], 0 offen     // 000000008FF0: E05C1000 8083742B
	v_add_f32_e64 v50, v50, 1.0                                // 000000008FF8: D1010032 0001E532
	v_add_f32_e64 v51, v51, 1.0                                // 000000009000: D1010033 0001E533
	v_add_f32_e64 v52, v52, 1.0                                // 000000009008: D1010034 0001E534
	v_add_f32_e64 v53, v53, 1.0                                // 000000009010: D1010035 0001E535
	v_rcp_f32_e32 v50, v50                                     // 000000009018: 7E644532
	v_rcp_f32_e32 v51, v51                                     // 00000000901C: 7E664533
	v_rcp_f32_e32 v52, v52                                     // 000000009020: 7E684534
	v_rcp_f32_e32 v53, v53                                     // 000000009024: 7E6A4535
	v_mul_f32_e32 v184, v184, v50                              // 000000009028: 0B7065B8
	v_mul_f32_e32 v185, v185, v51                              // 00000000902C: 0B7267B9
	v_mul_f32_e32 v186, v186, v52                              // 000000009030: 0B7469BA
	v_mul_f32_e32 v187, v187, v53                              // 000000009034: 0B766BBB
	buffer_load_dwordx4 a[120:123], v44, s[12:15], 0 offen     // 000000009038: E05C1000 8083782C
	v_mul_f32_e32 v50, v188, v188                              // 000000009040: 0A6579BC
	v_mul_f32_e32 v51, v189, v189                              // 000000009044: 0A677BBD
	v_mul_f32_e32 v52, v190, v190                              // 000000009048: 0A697DBE
	v_mul_f32_e32 v53, v191, v191                              // 00000000904C: 0A6B7FBF
	v_fma_f32 v50, v50, s77, v1                                // 000000009050: D1CB0032 04049B32
	v_fma_f32 v51, v51, s77, v1                                // 000000009058: D1CB0033 04049B33
	v_fma_f32 v52, v52, s77, v1                                // 000000009060: D1CB0034 04049B34
	v_fma_f32 v53, v53, s77, v1                                // 000000009068: D1CB0035 04049B35
	v_mul_f32_e32 v50, v50, v188                               // 000000009070: 0A657932
	v_mul_f32_e32 v51, v51, v189                               // 000000009074: 0A677B33
	v_mul_f32_e32 v52, v52, v190                               // 000000009078: 0A697D34
	v_mul_f32_e32 v53, v53, v191                               // 00000000907C: 0A6B7F35
	v_mul_f32_e64 v50, v50, s6                                 // 000000009080: D1050032 00000D32
	v_mul_f32_e64 v51, v51, s6                                 // 000000009088: D1050033 00000D33
	v_mul_f32_e64 v52, v52, s6                                 // 000000009090: D1050034 00000D34
	v_mul_f32_e64 v53, v53, s6                                 // 000000009098: D1050035 00000D35
	v_exp_f32_e32 v50, v50                                     // 0000000090A0: 7E644132
	v_exp_f32_e32 v51, v51                                     // 0000000090A4: 7E664133
	v_exp_f32_e32 v52, v52                                     // 0000000090A8: 7E684134
	v_exp_f32_e32 v53, v53                                     // 0000000090AC: 7E6A4135
	buffer_load_dwordx4 a[124:127], v45, s[12:15], 0 offen     // 0000000090B0: E05C1000 80837C2D
	v_add_f32_e64 v50, v50, 1.0                                // 0000000090B8: D1010032 0001E532
	v_add_f32_e64 v51, v51, 1.0                                // 0000000090C0: D1010033 0001E533
	v_add_f32_e64 v52, v52, 1.0                                // 0000000090C8: D1010034 0001E534
	v_add_f32_e64 v53, v53, 1.0                                // 0000000090D0: D1010035 0001E535
	v_rcp_f32_e32 v50, v50                                     // 0000000090D8: 7E644532
	v_rcp_f32_e32 v51, v51                                     // 0000000090DC: 7E664533
	v_rcp_f32_e32 v52, v52                                     // 0000000090E0: 7E684534
	v_rcp_f32_e32 v53, v53                                     // 0000000090E4: 7E6A4535
	v_mul_f32_e32 v188, v188, v50                              // 0000000090E8: 0B7865BC
	v_mul_f32_e32 v189, v189, v51                              // 0000000090EC: 0B7A67BD
	v_mul_f32_e32 v190, v190, v52                              // 0000000090F0: 0B7C69BE
	v_mul_f32_e32 v191, v191, v53                              // 0000000090F4: 0B7E6BBF
	v_mul_f32_dpp v128, v18, v128 row_newbcast:0 row_mask:0xf bank_mask:0xf// 0000000090F8: 0B0100FA FF015012
	v_mul_f32_dpp v129, v18, v129 row_newbcast:1 row_mask:0xf bank_mask:0xf// 000000009100: 0B0302FA FF015112
	v_mul_f32_dpp v130, v18, v130 row_newbcast:2 row_mask:0xf bank_mask:0xf// 000000009108: 0B0504FA FF015212
	v_mul_f32_dpp v131, v18, v131 row_newbcast:3 row_mask:0xf bank_mask:0xf// 000000009110: 0B0706FA FF015312
	v_mul_f32_dpp v132, v18, v132 row_newbcast:0 row_mask:0xf bank_mask:0xf// 000000009118: 0B0908FA FF015012
	v_mul_f32_dpp v133, v18, v133 row_newbcast:1 row_mask:0xf bank_mask:0xf// 000000009120: 0B0B0AFA FF015112
	v_mul_f32_dpp v134, v18, v134 row_newbcast:2 row_mask:0xf bank_mask:0xf// 000000009128: 0B0D0CFA FF015212
	v_mul_f32_dpp v135, v18, v135 row_newbcast:3 row_mask:0xf bank_mask:0xf// 000000009130: 0B0F0EFA FF015312
	v_mul_f32_dpp v136, v18, v136 row_newbcast:4 row_mask:0xf bank_mask:0xf// 000000009138: 0B1110FA FF015412
	v_mul_f32_dpp v137, v18, v137 row_newbcast:5 row_mask:0xf bank_mask:0xf// 000000009140: 0B1312FA FF015512
	v_mul_f32_dpp v138, v18, v138 row_newbcast:6 row_mask:0xf bank_mask:0xf// 000000009148: 0B1514FA FF015612
	v_mul_f32_dpp v139, v18, v139 row_newbcast:7 row_mask:0xf bank_mask:0xf// 000000009150: 0B1716FA FF015712
	v_mul_f32_dpp v140, v18, v140 row_newbcast:4 row_mask:0xf bank_mask:0xf// 000000009158: 0B1918FA FF015412
	v_mul_f32_dpp v141, v18, v141 row_newbcast:5 row_mask:0xf bank_mask:0xf// 000000009160: 0B1B1AFA FF015512
	v_mul_f32_dpp v142, v18, v142 row_newbcast:6 row_mask:0xf bank_mask:0xf// 000000009168: 0B1D1CFA FF015612
	v_mul_f32_dpp v143, v18, v143 row_newbcast:7 row_mask:0xf bank_mask:0xf// 000000009170: 0B1F1EFA FF015712
	v_mul_f32_dpp v144, v18, v144 row_newbcast:8 row_mask:0xf bank_mask:0xf// 000000009178: 0B2120FA FF015812
	v_mul_f32_dpp v145, v18, v145 row_newbcast:9 row_mask:0xf bank_mask:0xf// 000000009180: 0B2322FA FF015912
	v_mul_f32_dpp v146, v18, v146 row_newbcast:10 row_mask:0xf bank_mask:0xf// 000000009188: 0B2524FA FF015A12
	v_mul_f32_dpp v147, v18, v147 row_newbcast:11 row_mask:0xf bank_mask:0xf// 000000009190: 0B2726FA FF015B12
	v_mul_f32_dpp v148, v18, v148 row_newbcast:8 row_mask:0xf bank_mask:0xf// 000000009198: 0B2928FA FF015812
	v_mul_f32_dpp v149, v18, v149 row_newbcast:9 row_mask:0xf bank_mask:0xf// 0000000091A0: 0B2B2AFA FF015912
	v_mul_f32_dpp v150, v18, v150 row_newbcast:10 row_mask:0xf bank_mask:0xf// 0000000091A8: 0B2D2CFA FF015A12
	v_mul_f32_dpp v151, v18, v151 row_newbcast:11 row_mask:0xf bank_mask:0xf// 0000000091B0: 0B2F2EFA FF015B12
	v_mul_f32_dpp v152, v18, v152 row_newbcast:12 row_mask:0xf bank_mask:0xf// 0000000091B8: 0B3130FA FF015C12
	v_mul_f32_dpp v153, v18, v153 row_newbcast:13 row_mask:0xf bank_mask:0xf// 0000000091C0: 0B3332FA FF015D12
	v_mul_f32_dpp v154, v18, v154 row_newbcast:14 row_mask:0xf bank_mask:0xf// 0000000091C8: 0B3534FA FF015E12
	v_mul_f32_dpp v155, v18, v155 row_newbcast:15 row_mask:0xf bank_mask:0xf// 0000000091D0: 0B3736FA FF015F12
	v_mul_f32_dpp v156, v18, v156 row_newbcast:12 row_mask:0xf bank_mask:0xf// 0000000091D8: 0B3938FA FF015C12
	v_mul_f32_dpp v157, v18, v157 row_newbcast:13 row_mask:0xf bank_mask:0xf// 0000000091E0: 0B3B3AFA FF015D12
	v_mul_f32_dpp v158, v18, v158 row_newbcast:14 row_mask:0xf bank_mask:0xf// 0000000091E8: 0B3D3CFA FF015E12
	v_mul_f32_dpp v159, v18, v159 row_newbcast:15 row_mask:0xf bank_mask:0xf// 0000000091F0: 0B3F3EFA FF015F12
	v_mul_f32_dpp v160, v19, v160 row_newbcast:0 row_mask:0xf bank_mask:0xf// 0000000091F8: 0B4140FA FF015013
	v_mul_f32_dpp v161, v19, v161 row_newbcast:1 row_mask:0xf bank_mask:0xf// 000000009200: 0B4342FA FF015113
	v_mul_f32_dpp v162, v19, v162 row_newbcast:2 row_mask:0xf bank_mask:0xf// 000000009208: 0B4544FA FF015213
	v_mul_f32_dpp v163, v19, v163 row_newbcast:3 row_mask:0xf bank_mask:0xf// 000000009210: 0B4746FA FF015313
	v_mul_f32_dpp v164, v19, v164 row_newbcast:0 row_mask:0xf bank_mask:0xf// 000000009218: 0B4948FA FF015013
	v_mul_f32_dpp v165, v19, v165 row_newbcast:1 row_mask:0xf bank_mask:0xf// 000000009220: 0B4B4AFA FF015113
	v_mul_f32_dpp v166, v19, v166 row_newbcast:2 row_mask:0xf bank_mask:0xf// 000000009228: 0B4D4CFA FF015213
	v_mul_f32_dpp v167, v19, v167 row_newbcast:3 row_mask:0xf bank_mask:0xf// 000000009230: 0B4F4EFA FF015313
	v_mul_f32_dpp v168, v19, v168 row_newbcast:4 row_mask:0xf bank_mask:0xf// 000000009238: 0B5150FA FF015413
	v_mul_f32_dpp v169, v19, v169 row_newbcast:5 row_mask:0xf bank_mask:0xf// 000000009240: 0B5352FA FF015513
	v_mul_f32_dpp v170, v19, v170 row_newbcast:6 row_mask:0xf bank_mask:0xf// 000000009248: 0B5554FA FF015613
	v_mul_f32_dpp v171, v19, v171 row_newbcast:7 row_mask:0xf bank_mask:0xf// 000000009250: 0B5756FA FF015713
	v_mul_f32_dpp v172, v19, v172 row_newbcast:4 row_mask:0xf bank_mask:0xf// 000000009258: 0B5958FA FF015413
	v_mul_f32_dpp v173, v19, v173 row_newbcast:5 row_mask:0xf bank_mask:0xf// 000000009260: 0B5B5AFA FF015513
	v_mul_f32_dpp v174, v19, v174 row_newbcast:6 row_mask:0xf bank_mask:0xf// 000000009268: 0B5D5CFA FF015613
	v_mul_f32_dpp v175, v19, v175 row_newbcast:7 row_mask:0xf bank_mask:0xf// 000000009270: 0B5F5EFA FF015713
	v_mul_f32_dpp v176, v19, v176 row_newbcast:8 row_mask:0xf bank_mask:0xf// 000000009278: 0B6160FA FF015813
	v_mul_f32_dpp v177, v19, v177 row_newbcast:9 row_mask:0xf bank_mask:0xf// 000000009280: 0B6362FA FF015913
	v_mul_f32_dpp v178, v19, v178 row_newbcast:10 row_mask:0xf bank_mask:0xf// 000000009288: 0B6564FA FF015A13
	v_mul_f32_dpp v179, v19, v179 row_newbcast:11 row_mask:0xf bank_mask:0xf// 000000009290: 0B6766FA FF015B13
	v_mul_f32_dpp v180, v19, v180 row_newbcast:8 row_mask:0xf bank_mask:0xf// 000000009298: 0B6968FA FF015813
	v_mul_f32_dpp v181, v19, v181 row_newbcast:9 row_mask:0xf bank_mask:0xf// 0000000092A0: 0B6B6AFA FF015913
	v_mul_f32_dpp v182, v19, v182 row_newbcast:10 row_mask:0xf bank_mask:0xf// 0000000092A8: 0B6D6CFA FF015A13
	v_mul_f32_dpp v183, v19, v183 row_newbcast:11 row_mask:0xf bank_mask:0xf// 0000000092B0: 0B6F6EFA FF015B13
	v_mul_f32_dpp v184, v19, v184 row_newbcast:12 row_mask:0xf bank_mask:0xf// 0000000092B8: 0B7170FA FF015C13
	v_mul_f32_dpp v185, v19, v185 row_newbcast:13 row_mask:0xf bank_mask:0xf// 0000000092C0: 0B7372FA FF015D13
	v_mul_f32_dpp v186, v19, v186 row_newbcast:14 row_mask:0xf bank_mask:0xf// 0000000092C8: 0B7574FA FF015E13
	v_mul_f32_dpp v187, v19, v187 row_newbcast:15 row_mask:0xf bank_mask:0xf// 0000000092D0: 0B7776FA FF015F13
	v_mul_f32_dpp v188, v19, v188 row_newbcast:12 row_mask:0xf bank_mask:0xf// 0000000092D8: 0B7978FA FF015C13
	v_mul_f32_dpp v189, v19, v189 row_newbcast:13 row_mask:0xf bank_mask:0xf// 0000000092E0: 0B7B7AFA FF015D13
	v_mul_f32_dpp v190, v19, v190 row_newbcast:14 row_mask:0xf bank_mask:0xf// 0000000092E8: 0B7D7CFA FF015E13
	v_mul_f32_dpp v191, v19, v191 row_newbcast:15 row_mask:0xf bank_mask:0xf// 0000000092F0: 0B7F7EFA FF015F13
	buffer_load_dword v12, v5, s[16:19], 0 offen               // 0000000092F8: E0501000 80040C05
	v_mov_b32_e32 v22, 0x358637bd                              // 000000009300: 7E2C02FF 358637BD
	v_mov_b32_e32 v23, 0x358637bd                              // 000000009308: 7E2E02FF 358637BD
	v_max3_f32 v22, |v128|, |v129|, v22                        // 000000009310: D1D30316 045B0380
	v_max3_f32 v22, |v130|, |v131|, v22                        // 000000009318: D1D30316 045B0782
	v_max3_f32 v23, |v132|, |v133|, v23                        // 000000009320: D1D30317 045F0B84
	v_max3_f32 v23, |v134|, |v135|, v23                        // 000000009328: D1D30317 045F0F86
	v_max3_f32 v22, |v136|, |v137|, v22                        // 000000009330: D1D30316 045B1388
	v_max3_f32 v22, |v138|, |v139|, v22                        // 000000009338: D1D30316 045B178A
	v_max3_f32 v23, |v140|, |v141|, v23                        // 000000009340: D1D30317 045F1B8C
	v_max3_f32 v23, |v142|, |v143|, v23                        // 000000009348: D1D30317 045F1F8E
	v_max3_f32 v22, |v144|, |v145|, v22                        // 000000009350: D1D30316 045B2390
	v_max3_f32 v22, |v146|, |v147|, v22                        // 000000009358: D1D30316 045B2792
	v_max3_f32 v23, |v148|, |v149|, v23                        // 000000009360: D1D30317 045F2B94
	v_max3_f32 v23, |v150|, |v151|, v23                        // 000000009368: D1D30317 045F2F96
	v_max3_f32 v22, |v152|, |v153|, v22                        // 000000009370: D1D30316 045B3398
	v_max3_f32 v22, |v154|, |v155|, v22                        // 000000009378: D1D30316 045B379A
	v_max3_f32 v23, |v156|, |v157|, v23                        // 000000009380: D1D30317 045F3B9C
	v_max3_f32 v23, |v158|, |v159|, v23                        // 000000009388: D1D30317 045F3F9E
	v_max3_f32 v22, |v160|, |v161|, v22                        // 000000009390: D1D30316 045B43A0
	v_max3_f32 v22, |v162|, |v163|, v22                        // 000000009398: D1D30316 045B47A2
	v_max3_f32 v23, |v164|, |v165|, v23                        // 0000000093A0: D1D30317 045F4BA4
	v_max3_f32 v23, |v166|, |v167|, v23                        // 0000000093A8: D1D30317 045F4FA6
	v_max3_f32 v22, |v168|, |v169|, v22                        // 0000000093B0: D1D30316 045B53A8
	v_max3_f32 v22, |v170|, |v171|, v22                        // 0000000093B8: D1D30316 045B57AA
	v_max3_f32 v23, |v172|, |v173|, v23                        // 0000000093C0: D1D30317 045F5BAC
	v_max3_f32 v23, |v174|, |v175|, v23                        // 0000000093C8: D1D30317 045F5FAE
	v_max3_f32 v22, |v176|, |v177|, v22                        // 0000000093D0: D1D30316 045B63B0
	v_max3_f32 v22, |v178|, |v179|, v22                        // 0000000093D8: D1D30316 045B67B2
	v_max3_f32 v23, |v180|, |v181|, v23                        // 0000000093E0: D1D30317 045F6BB4
	v_max3_f32 v23, |v182|, |v183|, v23                        // 0000000093E8: D1D30317 045F6FB6
	v_max3_f32 v22, |v184|, |v185|, v22                        // 0000000093F0: D1D30316 045B73B8
	v_max3_f32 v22, |v186|, |v187|, v22                        // 0000000093F8: D1D30316 045B77BA
	v_max3_f32 v23, |v188|, |v189|, v23                        // 000000009400: D1D30317 045F7BBC
	v_max3_f32 v23, |v190|, |v191|, v23                        // 000000009408: D1D30317 045F7FBE
	v_lshlrev_b32_e32 v50, 3, v0                               // 000000009410: 24640083
	s_mul_i32 s60, 0x200, s7                                   // 000000009414: 923C07FF 00000200
	v_add_u32_e32 v50, s60, v50                                // 00000000941C: 6864643C
	ds_write_b64 v50, v[22:23] offset:16640                    // 000000009420: D89A4100 00001632
	s_waitcnt lgkmcnt(0)                                       // 000000009428: BF8CC07F
	s_barrier                                                  // 00000000942C: BF8A0000
	v_and_b32_e32 v50, 15, v0                                  // 000000009430: 2664008F
	v_lshlrev_b32_e32 v50, 3, v50                              // 000000009434: 24646483
	ds_read_b64 v[96:97], v50 offset:16640                     // 000000009438: D8EC4100 60000032
	ds_read_b64 v[98:99], v50 offset:16768                     // 000000009440: D8EC4180 62000032
	ds_read_b64 v[100:101], v50 offset:16896                   // 000000009448: D8EC4200 64000032
	ds_read_b64 v[102:103], v50 offset:17024                   // 000000009450: D8EC4280 66000032
	ds_read_b64 v[104:105], v50 offset:17152                   // 000000009458: D8EC4300 68000032
	ds_read_b64 v[106:107], v50 offset:17280                   // 000000009460: D8EC4380 6A000032
	ds_read_b64 v[108:109], v50 offset:17408                   // 000000009468: D8EC4400 6C000032
	ds_read_b64 v[110:111], v50 offset:17536                   // 000000009470: D8EC4480 6E000032
	ds_read_b64 v[112:113], v50 offset:17664                   // 000000009478: D8EC4500 70000032
	ds_read_b64 v[114:115], v50 offset:17792                   // 000000009480: D8EC4580 72000032
	ds_read_b64 v[116:117], v50 offset:17920                   // 000000009488: D8EC4600 74000032
	ds_read_b64 v[118:119], v50 offset:18048                   // 000000009490: D8EC4680 76000032
	ds_read_b64 v[120:121], v50 offset:18176                   // 000000009498: D8EC4700 78000032
	ds_read_b64 v[122:123], v50 offset:18304                   // 0000000094A0: D8EC4780 7A000032
	ds_read_b64 v[124:125], v50 offset:18432                   // 0000000094A8: D8EC4800 7C000032
	ds_read_b64 v[126:127], v50 offset:18560                   // 0000000094B0: D8EC4880 7E000032
	s_waitcnt lgkmcnt(0)                                       // 0000000094B8: BF8CC07F
	v_max3_f32 v22, |v96|, |v98|, v22                          // 0000000094BC: D1D30316 045AC560
	v_max3_f32 v23, |v97|, |v99|, v23                          // 0000000094C4: D1D30317 045EC761
	v_max3_f32 v22, |v100|, |v102|, v22                        // 0000000094CC: D1D30316 045ACD64
	v_max3_f32 v23, |v101|, |v103|, v23                        // 0000000094D4: D1D30317 045ECF65
	v_max3_f32 v22, |v104|, |v106|, v22                        // 0000000094DC: D1D30316 045AD568
	v_max3_f32 v23, |v105|, |v107|, v23                        // 0000000094E4: D1D30317 045ED769
	v_max3_f32 v22, |v108|, |v110|, v22                        // 0000000094EC: D1D30316 045ADD6C
	v_max3_f32 v23, |v109|, |v111|, v23                        // 0000000094F4: D1D30317 045EDF6D
	v_max3_f32 v22, |v112|, |v114|, v22                        // 0000000094FC: D1D30316 045AE570
	v_max3_f32 v23, |v113|, |v115|, v23                        // 000000009504: D1D30317 045EE771
	v_max3_f32 v22, |v116|, |v118|, v22                        // 00000000950C: D1D30316 045AED74
	v_max3_f32 v23, |v117|, |v119|, v23                        // 000000009514: D1D30317 045EEF75
	v_max3_f32 v22, |v120|, |v122|, v22                        // 00000000951C: D1D30316 045AF578
	v_max3_f32 v23, |v121|, |v123|, v23                        // 000000009524: D1D30317 045EF779
	v_max3_f32 v22, |v124|, |v126|, v22                        // 00000000952C: D1D30316 045AFD7C
	v_max3_f32 v23, |v125|, |v127|, v23                        // 000000009534: D1D30317 045EFF7D
	v_rcp_f32_e32 v22, v22                                     // 00000000953C: 7E2C4516
	v_rcp_f32_e32 v23, v23                                     // 000000009540: 7E2E4517
	v_mul_f32_e32 v22, 0x42fe0000, v22                         // 000000009544: 0A2C2CFF 42FE0000
	v_mul_f32_e32 v23, 0x42fe0000, v23                         // 00000000954C: 0A2E2EFF 42FE0000
	v_mul_f32_e32 v128, v22, v128                              // 000000009554: 0B010116
	v_mul_f32_e32 v129, v22, v129                              // 000000009558: 0B030316
	v_mul_f32_e32 v130, v22, v130                              // 00000000955C: 0B050516
	v_mul_f32_e32 v131, v22, v131                              // 000000009560: 0B070716
	v_cvt_i32_f32_e32 v128, v128                               // 000000009564: 7F001180
	v_cvt_i32_f32_e32 v129, v129                               // 000000009568: 7F021181
	v_cvt_i32_f32_e32 v130, v130                               // 00000000956C: 7F041182
	v_cvt_i32_f32_e32 v131, v131                               // 000000009570: 7F061183
	v_perm_b32 v128, v129, v128, s53                           // 000000009574: D1ED0080 00D70181
	v_perm_b32 v128, v130, v128, s54                           // 00000000957C: D1ED0080 00DB0182
	v_perm_b32 v128, v131, v128, s55                           // 000000009584: D1ED0080 00DF0183
	v_mul_f32_e32 v132, v23, v132                              // 00000000958C: 0B090917
	v_mul_f32_e32 v133, v23, v133                              // 000000009590: 0B0B0B17
	v_mul_f32_e32 v134, v23, v134                              // 000000009594: 0B0D0D17
	v_mul_f32_e32 v135, v23, v135                              // 000000009598: 0B0F0F17
	v_cvt_i32_f32_e32 v132, v132                               // 00000000959C: 7F081184
	v_cvt_i32_f32_e32 v133, v133                               // 0000000095A0: 7F0A1185
	v_cvt_i32_f32_e32 v134, v134                               // 0000000095A4: 7F0C1186
	v_cvt_i32_f32_e32 v135, v135                               // 0000000095A8: 7F0E1187
	v_perm_b32 v129, v133, v132, s53                           // 0000000095AC: D1ED0081 00D70985
	v_perm_b32 v129, v134, v129, s54                           // 0000000095B4: D1ED0081 00DB0386
	v_perm_b32 v129, v135, v129, s55                           // 0000000095BC: D1ED0081 00DF0387
	v_mul_f32_e32 v136, v22, v136                              // 0000000095C4: 0B111116
	v_mul_f32_e32 v137, v22, v137                              // 0000000095C8: 0B131316
	v_mul_f32_e32 v138, v22, v138                              // 0000000095CC: 0B151516
	v_mul_f32_e32 v139, v22, v139                              // 0000000095D0: 0B171716
	v_cvt_i32_f32_e32 v136, v136                               // 0000000095D4: 7F101188
	v_cvt_i32_f32_e32 v137, v137                               // 0000000095D8: 7F121189
	v_cvt_i32_f32_e32 v138, v138                               // 0000000095DC: 7F14118A
	v_cvt_i32_f32_e32 v139, v139                               // 0000000095E0: 7F16118B
	v_perm_b32 v130, v137, v136, s53                           // 0000000095E4: D1ED0082 00D71189
	v_perm_b32 v130, v138, v130, s54                           // 0000000095EC: D1ED0082 00DB058A
	v_perm_b32 v130, v139, v130, s55                           // 0000000095F4: D1ED0082 00DF058B
	v_mul_f32_e32 v140, v23, v140                              // 0000000095FC: 0B191917
	v_mul_f32_e32 v141, v23, v141                              // 000000009600: 0B1B1B17
	v_mul_f32_e32 v142, v23, v142                              // 000000009604: 0B1D1D17
	v_mul_f32_e32 v143, v23, v143                              // 000000009608: 0B1F1F17
	v_cvt_i32_f32_e32 v140, v140                               // 00000000960C: 7F18118C
	v_cvt_i32_f32_e32 v141, v141                               // 000000009610: 7F1A118D
	v_cvt_i32_f32_e32 v142, v142                               // 000000009614: 7F1C118E
	v_cvt_i32_f32_e32 v143, v143                               // 000000009618: 7F1E118F
	v_perm_b32 v131, v141, v140, s53                           // 00000000961C: D1ED0083 00D7198D
	v_perm_b32 v131, v142, v131, s54                           // 000000009624: D1ED0083 00DB078E
	v_perm_b32 v131, v143, v131, s55                           // 00000000962C: D1ED0083 00DF078F
	v_mul_f32_e32 v144, v22, v144                              // 000000009634: 0B212116
	v_mul_f32_e32 v145, v22, v145                              // 000000009638: 0B232316
	v_mul_f32_e32 v146, v22, v146                              // 00000000963C: 0B252516
	v_mul_f32_e32 v147, v22, v147                              // 000000009640: 0B272716
	v_cvt_i32_f32_e32 v144, v144                               // 000000009644: 7F201190
	v_cvt_i32_f32_e32 v145, v145                               // 000000009648: 7F221191
	v_cvt_i32_f32_e32 v146, v146                               // 00000000964C: 7F241192
	v_cvt_i32_f32_e32 v147, v147                               // 000000009650: 7F261193
	v_perm_b32 v132, v145, v144, s53                           // 000000009654: D1ED0084 00D72191
	v_perm_b32 v132, v146, v132, s54                           // 00000000965C: D1ED0084 00DB0992
	v_perm_b32 v132, v147, v132, s55                           // 000000009664: D1ED0084 00DF0993
	v_mul_f32_e32 v148, v23, v148                              // 00000000966C: 0B292917
	v_mul_f32_e32 v149, v23, v149                              // 000000009670: 0B2B2B17
	v_mul_f32_e32 v150, v23, v150                              // 000000009674: 0B2D2D17
	v_mul_f32_e32 v151, v23, v151                              // 000000009678: 0B2F2F17
	v_cvt_i32_f32_e32 v148, v148                               // 00000000967C: 7F281194
	v_cvt_i32_f32_e32 v149, v149                               // 000000009680: 7F2A1195
	v_cvt_i32_f32_e32 v150, v150                               // 000000009684: 7F2C1196
	v_cvt_i32_f32_e32 v151, v151                               // 000000009688: 7F2E1197
	v_perm_b32 v133, v149, v148, s53                           // 00000000968C: D1ED0085 00D72995
	v_perm_b32 v133, v150, v133, s54                           // 000000009694: D1ED0085 00DB0B96
	v_perm_b32 v133, v151, v133, s55                           // 00000000969C: D1ED0085 00DF0B97
	v_mul_f32_e32 v152, v22, v152                              // 0000000096A4: 0B313116
	v_mul_f32_e32 v153, v22, v153                              // 0000000096A8: 0B333316
	v_mul_f32_e32 v154, v22, v154                              // 0000000096AC: 0B353516
	v_mul_f32_e32 v155, v22, v155                              // 0000000096B0: 0B373716
	v_cvt_i32_f32_e32 v152, v152                               // 0000000096B4: 7F301198
	v_cvt_i32_f32_e32 v153, v153                               // 0000000096B8: 7F321199
	v_cvt_i32_f32_e32 v154, v154                               // 0000000096BC: 7F34119A
	v_cvt_i32_f32_e32 v155, v155                               // 0000000096C0: 7F36119B
	v_perm_b32 v134, v153, v152, s53                           // 0000000096C4: D1ED0086 00D73199
	v_perm_b32 v134, v154, v134, s54                           // 0000000096CC: D1ED0086 00DB0D9A
	v_perm_b32 v134, v155, v134, s55                           // 0000000096D4: D1ED0086 00DF0D9B
	v_mul_f32_e32 v156, v23, v156                              // 0000000096DC: 0B393917
	v_mul_f32_e32 v157, v23, v157                              // 0000000096E0: 0B3B3B17
	v_mul_f32_e32 v158, v23, v158                              // 0000000096E4: 0B3D3D17
	v_mul_f32_e32 v159, v23, v159                              // 0000000096E8: 0B3F3F17
	v_cvt_i32_f32_e32 v156, v156                               // 0000000096EC: 7F38119C
	v_cvt_i32_f32_e32 v157, v157                               // 0000000096F0: 7F3A119D
	v_cvt_i32_f32_e32 v158, v158                               // 0000000096F4: 7F3C119E
	v_cvt_i32_f32_e32 v159, v159                               // 0000000096F8: 7F3E119F
	v_perm_b32 v135, v157, v156, s53                           // 0000000096FC: D1ED0087 00D7399D
	v_perm_b32 v135, v158, v135, s54                           // 000000009704: D1ED0087 00DB0F9E
	v_perm_b32 v135, v159, v135, s55                           // 00000000970C: D1ED0087 00DF0F9F
	v_mul_f32_e32 v160, v22, v160                              // 000000009714: 0B414116
	v_mul_f32_e32 v161, v22, v161                              // 000000009718: 0B434316
	v_mul_f32_e32 v162, v22, v162                              // 00000000971C: 0B454516
	v_mul_f32_e32 v163, v22, v163                              // 000000009720: 0B474716
	v_cvt_i32_f32_e32 v160, v160                               // 000000009724: 7F4011A0
	v_cvt_i32_f32_e32 v161, v161                               // 000000009728: 7F4211A1
	v_cvt_i32_f32_e32 v162, v162                               // 00000000972C: 7F4411A2
	v_cvt_i32_f32_e32 v163, v163                               // 000000009730: 7F4611A3
	v_perm_b32 v136, v161, v160, s53                           // 000000009734: D1ED0088 00D741A1
	v_perm_b32 v136, v162, v136, s54                           // 00000000973C: D1ED0088 00DB11A2
	v_perm_b32 v136, v163, v136, s55                           // 000000009744: D1ED0088 00DF11A3
	v_mul_f32_e32 v164, v23, v164                              // 00000000974C: 0B494917
	v_mul_f32_e32 v165, v23, v165                              // 000000009750: 0B4B4B17
	v_mul_f32_e32 v166, v23, v166                              // 000000009754: 0B4D4D17
	v_mul_f32_e32 v167, v23, v167                              // 000000009758: 0B4F4F17
	v_cvt_i32_f32_e32 v164, v164                               // 00000000975C: 7F4811A4
	v_cvt_i32_f32_e32 v165, v165                               // 000000009760: 7F4A11A5
	v_cvt_i32_f32_e32 v166, v166                               // 000000009764: 7F4C11A6
	v_cvt_i32_f32_e32 v167, v167                               // 000000009768: 7F4E11A7
	v_perm_b32 v137, v165, v164, s53                           // 00000000976C: D1ED0089 00D749A5
	v_perm_b32 v137, v166, v137, s54                           // 000000009774: D1ED0089 00DB13A6
	v_perm_b32 v137, v167, v137, s55                           // 00000000977C: D1ED0089 00DF13A7
	v_mul_f32_e32 v168, v22, v168                              // 000000009784: 0B515116
	v_mul_f32_e32 v169, v22, v169                              // 000000009788: 0B535316
	v_mul_f32_e32 v170, v22, v170                              // 00000000978C: 0B555516
	v_mul_f32_e32 v171, v22, v171                              // 000000009790: 0B575716
	v_cvt_i32_f32_e32 v168, v168                               // 000000009794: 7F5011A8
	v_cvt_i32_f32_e32 v169, v169                               // 000000009798: 7F5211A9
	v_cvt_i32_f32_e32 v170, v170                               // 00000000979C: 7F5411AA
	v_cvt_i32_f32_e32 v171, v171                               // 0000000097A0: 7F5611AB
	v_perm_b32 v138, v169, v168, s53                           // 0000000097A4: D1ED008A 00D751A9
	v_perm_b32 v138, v170, v138, s54                           // 0000000097AC: D1ED008A 00DB15AA
	v_perm_b32 v138, v171, v138, s55                           // 0000000097B4: D1ED008A 00DF15AB
	v_mul_f32_e32 v172, v23, v172                              // 0000000097BC: 0B595917
	v_mul_f32_e32 v173, v23, v173                              // 0000000097C0: 0B5B5B17
	v_mul_f32_e32 v174, v23, v174                              // 0000000097C4: 0B5D5D17
	v_mul_f32_e32 v175, v23, v175                              // 0000000097C8: 0B5F5F17
	v_cvt_i32_f32_e32 v172, v172                               // 0000000097CC: 7F5811AC
	v_cvt_i32_f32_e32 v173, v173                               // 0000000097D0: 7F5A11AD
	v_cvt_i32_f32_e32 v174, v174                               // 0000000097D4: 7F5C11AE
	v_cvt_i32_f32_e32 v175, v175                               // 0000000097D8: 7F5E11AF
	v_perm_b32 v139, v173, v172, s53                           // 0000000097DC: D1ED008B 00D759AD
	v_perm_b32 v139, v174, v139, s54                           // 0000000097E4: D1ED008B 00DB17AE
	v_perm_b32 v139, v175, v139, s55                           // 0000000097EC: D1ED008B 00DF17AF
	v_mul_f32_e32 v176, v22, v176                              // 0000000097F4: 0B616116
	v_mul_f32_e32 v177, v22, v177                              // 0000000097F8: 0B636316
	v_mul_f32_e32 v178, v22, v178                              // 0000000097FC: 0B656516
	v_mul_f32_e32 v179, v22, v179                              // 000000009800: 0B676716
	v_cvt_i32_f32_e32 v176, v176                               // 000000009804: 7F6011B0
	v_cvt_i32_f32_e32 v177, v177                               // 000000009808: 7F6211B1
	v_cvt_i32_f32_e32 v178, v178                               // 00000000980C: 7F6411B2
	v_cvt_i32_f32_e32 v179, v179                               // 000000009810: 7F6611B3
	v_perm_b32 v140, v177, v176, s53                           // 000000009814: D1ED008C 00D761B1
	v_perm_b32 v140, v178, v140, s54                           // 00000000981C: D1ED008C 00DB19B2
	v_perm_b32 v140, v179, v140, s55                           // 000000009824: D1ED008C 00DF19B3
	v_mul_f32_e32 v180, v23, v180                              // 00000000982C: 0B696917
	v_mul_f32_e32 v181, v23, v181                              // 000000009830: 0B6B6B17
	v_mul_f32_e32 v182, v23, v182                              // 000000009834: 0B6D6D17
	v_mul_f32_e32 v183, v23, v183                              // 000000009838: 0B6F6F17
	v_cvt_i32_f32_e32 v180, v180                               // 00000000983C: 7F6811B4
	v_cvt_i32_f32_e32 v181, v181                               // 000000009840: 7F6A11B5
	v_cvt_i32_f32_e32 v182, v182                               // 000000009844: 7F6C11B6
	v_cvt_i32_f32_e32 v183, v183                               // 000000009848: 7F6E11B7
	v_perm_b32 v141, v181, v180, s53                           // 00000000984C: D1ED008D 00D769B5
	v_perm_b32 v141, v182, v141, s54                           // 000000009854: D1ED008D 00DB1BB6
	v_perm_b32 v141, v183, v141, s55                           // 00000000985C: D1ED008D 00DF1BB7
	v_mul_f32_e32 v184, v22, v184                              // 000000009864: 0B717116
	v_mul_f32_e32 v185, v22, v185                              // 000000009868: 0B737316
	v_mul_f32_e32 v186, v22, v186                              // 00000000986C: 0B757516
	v_mul_f32_e32 v187, v22, v187                              // 000000009870: 0B777716
	v_cvt_i32_f32_e32 v184, v184                               // 000000009874: 7F7011B8
	v_cvt_i32_f32_e32 v185, v185                               // 000000009878: 7F7211B9
	v_cvt_i32_f32_e32 v186, v186                               // 00000000987C: 7F7411BA
	v_cvt_i32_f32_e32 v187, v187                               // 000000009880: 7F7611BB
	v_perm_b32 v142, v185, v184, s53                           // 000000009884: D1ED008E 00D771B9
	v_perm_b32 v142, v186, v142, s54                           // 00000000988C: D1ED008E 00DB1DBA
	v_perm_b32 v142, v187, v142, s55                           // 000000009894: D1ED008E 00DF1DBB
	v_mul_f32_e32 v188, v23, v188                              // 00000000989C: 0B797917
	v_mul_f32_e32 v189, v23, v189                              // 0000000098A0: 0B7B7B17
	v_mul_f32_e32 v190, v23, v190                              // 0000000098A4: 0B7D7D17
	v_mul_f32_e32 v191, v23, v191                              // 0000000098A8: 0B7F7F17
	v_cvt_i32_f32_e32 v188, v188                               // 0000000098AC: 7F7811BC
	v_cvt_i32_f32_e32 v189, v189                               // 0000000098B0: 7F7A11BD
	v_cvt_i32_f32_e32 v190, v190                               // 0000000098B4: 7F7C11BE
	v_cvt_i32_f32_e32 v191, v191                               // 0000000098B8: 7F7E11BF
	v_perm_b32 v143, v189, v188, s53                           // 0000000098BC: D1ED008F 00D779BD
	v_perm_b32 v143, v190, v143, s54                           // 0000000098C4: D1ED008F 00DB1FBE
	v_perm_b32 v143, v191, v143, s55                           // 0000000098CC: D1ED008F 00DF1FBF
	v_rcp_f32_e32 v24, v22                                     // 0000000098D4: 7E304516
	v_rcp_f32_e32 v25, v23                                     // 0000000098D8: 7E324517
	v_lshrrev_b32_e32 v50, 5, v0                               // 0000000098DC: 20640085
	v_lshlrev_b32_e32 v51, 5, v50                              // 0000000098E0: 24666485
	v_and_b32_e32 v50, 31, v0                                  // 0000000098E4: 2664009F
	v_lshrrev_b32_e32 v52, 4, v50                              // 0000000098E8: 20686484
	v_add_u32_e32 v51, v52, v51                                // 0000000098EC: 68666734
	v_and_b32_e32 v50, 15, v0                                  // 0000000098F0: 2664008F
	v_lshlrev_b32_e32 v50, 1, v50                              // 0000000098F4: 24646481
	v_add_u32_e32 v51, v50, v51                                // 0000000098F8: 68666732
	v_lshlrev_b32_e32 v50, 2, v51                              // 0000000098FC: 24646682
	s_mul_i32 s60, 0x100, s7                                   // 000000009900: 923C07FF 00000100
	v_add_u32_e64 v50, v50, s60                                // 000000009908: D1340032 00007932
	ds_write_b32 v50, v128 offset:18688                        // 000000009910: D81A4900 00008032
	ds_write_b32 v50, v129 offset:26880                        // 000000009918: D81A6900 00008132
	ds_write_b32 v50, v130 offset:19712                        // 000000009920: D81A4D00 00008232
	ds_write_b32 v50, v131 offset:27904                        // 000000009928: D81A6D00 00008332
	ds_write_b32 v50, v132 offset:20736                        // 000000009930: D81A5100 00008432
	ds_write_b32 v50, v133 offset:28928                        // 000000009938: D81A7100 00008532
	ds_write_b32 v50, v134 offset:21760                        // 000000009940: D81A5500 00008632
	ds_write_b32 v50, v135 offset:29952                        // 000000009948: D81A7500 00008732
	ds_write_b32 v50, v136 offset:22784                        // 000000009950: D81A5900 00008832
	ds_write_b32 v50, v137 offset:30976                        // 000000009958: D81A7900 00008932
	ds_write_b32 v50, v138 offset:23808                        // 000000009960: D81A5D00 00008A32
	ds_write_b32 v50, v139 offset:32000                        // 000000009968: D81A7D00 00008B32
	ds_write_b32 v50, v140 offset:24832                        // 000000009970: D81A6100 00008C32
	ds_write_b32 v50, v141 offset:33024                        // 000000009978: D81A8100 00008D32
	ds_write_b32 v50, v142 offset:25856                        // 000000009980: D81A6500 00008E32
	ds_write_b32 v50, v143 offset:34048                        // 000000009988: D81A8500 00008F32
	s_waitcnt lgkmcnt(0)                                       // 000000009990: BF8CC07F
	s_barrier                                                  // 000000009994: BF8A0000
	v_lshrrev_b32_e32 v50, 4, v0                               // 000000009998: 20640084
	v_lshlrev_b32_e32 v51, 6, v50                              // 00000000999C: 24666486
	v_and_b32_e32 v50, 15, v0                                  // 0000000099A0: 2664008F
	v_lshlrev_b32_e32 v50, 1, v50                              // 0000000099A4: 24646481
	v_add_u32_e32 v51, v50, v51                                // 0000000099A8: 68666732
	v_lshlrev_b32_e32 v50, 2, v51                              // 0000000099AC: 24646682
	ds_read_b64 v[128:129], v50 offset:18688                   // 0000000099B0: D8EC4900 80000032
	ds_read_b64 v[130:131], v50 offset:18816                   // 0000000099B8: D8EC4980 82000032
	ds_read_b64 v[132:133], v50 offset:19712                   // 0000000099C0: D8EC4D00 84000032
	ds_read_b64 v[134:135], v50 offset:19840                   // 0000000099C8: D8EC4D80 86000032
	ds_read_b64 v[136:137], v50 offset:20736                   // 0000000099D0: D8EC5100 88000032
	ds_read_b64 v[138:139], v50 offset:20864                   // 0000000099D8: D8EC5180 8A000032
	ds_read_b64 v[140:141], v50 offset:21760                   // 0000000099E0: D8EC5500 8C000032
	ds_read_b64 v[142:143], v50 offset:21888                   // 0000000099E8: D8EC5580 8E000032
	ds_read_b64 v[144:145], v50 offset:22784                   // 0000000099F0: D8EC5900 90000032
	ds_read_b64 v[146:147], v50 offset:22912                   // 0000000099F8: D8EC5980 92000032
	ds_read_b64 v[148:149], v50 offset:23808                   // 000000009A00: D8EC5D00 94000032
	ds_read_b64 v[150:151], v50 offset:23936                   // 000000009A08: D8EC5D80 96000032
	ds_read_b64 v[152:153], v50 offset:24832                   // 000000009A10: D8EC6100 98000032
	ds_read_b64 v[154:155], v50 offset:24960                   // 000000009A18: D8EC6180 9A000032
	ds_read_b64 v[156:157], v50 offset:25856                   // 000000009A20: D8EC6500 9C000032
	ds_read_b64 v[158:159], v50 offset:25984                   // 000000009A28: D8EC6580 9E000032
	ds_read_b64 v[160:161], v50 offset:26880                   // 000000009A30: D8EC6900 A0000032
	ds_read_b64 v[162:163], v50 offset:27008                   // 000000009A38: D8EC6980 A2000032
	ds_read_b64 v[164:165], v50 offset:27904                   // 000000009A40: D8EC6D00 A4000032
	ds_read_b64 v[166:167], v50 offset:28032                   // 000000009A48: D8EC6D80 A6000032
	ds_read_b64 v[168:169], v50 offset:28928                   // 000000009A50: D8EC7100 A8000032
	ds_read_b64 v[170:171], v50 offset:29056                   // 000000009A58: D8EC7180 AA000032
	ds_read_b64 v[172:173], v50 offset:29952                   // 000000009A60: D8EC7500 AC000032
	ds_read_b64 v[174:175], v50 offset:30080                   // 000000009A68: D8EC7580 AE000032
	ds_read_b64 v[176:177], v50 offset:30976                   // 000000009A70: D8EC7900 B0000032
	ds_read_b64 v[178:179], v50 offset:31104                   // 000000009A78: D8EC7980 B2000032
	ds_read_b64 v[180:181], v50 offset:32000                   // 000000009A80: D8EC7D00 B4000032
	ds_read_b64 v[182:183], v50 offset:32128                   // 000000009A88: D8EC7D80 B6000032
	ds_read_b64 v[184:185], v50 offset:33024                   // 000000009A90: D8EC8100 B8000032
	ds_read_b64 v[186:187], v50 offset:33152                   // 000000009A98: D8EC8180 BA000032
	ds_read_b64 v[188:189], v50 offset:34048                   // 000000009AA0: D8EC8500 BC000032
	ds_read_b64 v[190:191], v50 offset:34176                   // 000000009AA8: D8EC8580 BE000032
	s_add_u32 s12, s56, s12                                    // 000000009AB0: 800C0C38
	s_addc_u32 s13, 0, s13                                     // 000000009AB4: 820D0D80
	s_add_u32 s16, s79, s16                                    // 000000009AB8: 8010104F
	s_addc_u32 s17, 0, s17                                     // 000000009ABC: 82111180
	s_mov_b32 s80, 0                                           // 000000009AC0: BED00080
	s_waitcnt vmcnt(0) expcnt(0) lgkmcnt(0)                    // 000000009AC4: BF8C0000

0000000000009ac8 <label_1B32>:
	s_waitcnt vmcnt(45)                                        // 000000009AC8: BF8C8F7D
	s_barrier                                                  // 000000009ACC: BF8A0000
	v_mfma_i32_16x16x32_i8 v[192:195], a[0:1], v[128:129], 0   // 000000009AD0: D3D700C0 0A030100
	buffer_load_dwordx4 a[128:131], v42, s[12:15], 0 offen     // 000000009AD8: E05C1000 8083802A
	v_mfma_i32_16x16x32_i8 v[192:195], a[2:3], v[130:131], v[192:195]// 000000009AE0: D3D700C0 0F030502
	v_mfma_i32_16x16x32_i8 v[196:199], a[0:1], v[160:161], 0   // 000000009AE8: D3D700C4 0A034100
	v_mfma_i32_16x16x32_i8 v[196:199], a[2:3], v[162:163], v[196:199]// 000000009AF0: D3D700C4 0F134502
	v_mfma_i32_16x16x32_i8 v[200:203], a[4:5], v[128:129], 0   // 000000009AF8: D3D700C8 0A030104
	buffer_load_dwordx4 a[132:135], v43, s[12:15], 0 offen     // 000000009B00: E05C1000 8083842B
	v_mfma_i32_16x16x32_i8 v[200:203], a[6:7], v[130:131], v[200:203]// 000000009B08: D3D700C8 0F230506
	v_mfma_i32_16x16x32_i8 v[204:207], a[4:5], v[160:161], 0   // 000000009B10: D3D700CC 0A034104
	v_mfma_i32_16x16x32_i8 v[204:207], a[6:7], v[162:163], v[204:207]// 000000009B18: D3D700CC 0F334506
	v_mfma_i32_16x16x32_i8 v[208:211], a[8:9], v[128:129], 0   // 000000009B20: D3D700D0 0A030108
	buffer_load_dwordx4 a[136:139], v44, s[12:15], 0 offen     // 000000009B28: E05C1000 8083882C
	v_mfma_i32_16x16x32_i8 v[208:211], a[10:11], v[130:131], v[208:211]// 000000009B30: D3D700D0 0F43050A
	v_mfma_i32_16x16x32_i8 v[212:215], a[8:9], v[160:161], 0   // 000000009B38: D3D700D4 0A034108
	v_mfma_i32_16x16x32_i8 v[212:215], a[10:11], v[162:163], v[212:215]// 000000009B40: D3D700D4 0F53450A
	v_mfma_i32_16x16x32_i8 v[216:219], a[12:13], v[128:129], 0 // 000000009B48: D3D700D8 0A03010C
	buffer_load_dwordx4 a[140:143], v45, s[12:15], 0 offen     // 000000009B50: E05C1000 80838C2D
	s_add_u32 s12, s78, s12                                    // 000000009B58: 800C0C4E
	s_addc_u32 s13, 0, s13                                     // 000000009B5C: 820D0D80
	v_mfma_i32_16x16x32_i8 v[216:219], a[14:15], v[130:131], v[216:219]// 000000009B60: D3D700D8 0F63050E
	v_mfma_i32_16x16x32_i8 v[220:223], a[12:13], v[160:161], 0 // 000000009B68: D3D700DC 0A03410C
	v_mfma_i32_16x16x32_i8 v[220:223], a[14:15], v[162:163], v[220:223]// 000000009B70: D3D700DC 0F73450E
	s_waitcnt vmcnt(45)                                        // 000000009B78: BF8C8F7D
	v_mfma_i32_16x16x32_i8 v[192:195], a[16:17], v[132:133], v[192:195]// 000000009B7C: D3D700C0 0F030910
	buffer_load_dwordx4 a[144:147], v42, s[12:15], 0 offen     // 000000009B84: E05C1000 8083902A
	v_mfma_i32_16x16x32_i8 v[192:195], a[18:19], v[134:135], v[192:195]// 000000009B8C: D3D700C0 0F030D12
	v_mfma_i32_16x16x32_i8 v[196:199], a[16:17], v[164:165], v[196:199]// 000000009B94: D3D700C4 0F134910
	v_mfma_i32_16x16x32_i8 v[196:199], a[18:19], v[166:167], v[196:199]// 000000009B9C: D3D700C4 0F134D12
	v_mfma_i32_16x16x32_i8 v[200:203], a[20:21], v[132:133], v[200:203]// 000000009BA4: D3D700C8 0F230914
	buffer_load_dwordx4 a[148:151], v43, s[12:15], 0 offen     // 000000009BAC: E05C1000 8083942B
	v_mfma_i32_16x16x32_i8 v[200:203], a[22:23], v[134:135], v[200:203]// 000000009BB4: D3D700C8 0F230D16
	v_mfma_i32_16x16x32_i8 v[204:207], a[20:21], v[164:165], v[204:207]// 000000009BBC: D3D700CC 0F334914
	v_mfma_i32_16x16x32_i8 v[204:207], a[22:23], v[166:167], v[204:207]// 000000009BC4: D3D700CC 0F334D16
	v_mfma_i32_16x16x32_i8 v[208:211], a[24:25], v[132:133], v[208:211]// 000000009BCC: D3D700D0 0F430918
	buffer_load_dwordx4 a[152:155], v44, s[12:15], 0 offen     // 000000009BD4: E05C1000 8083982C
	v_mfma_i32_16x16x32_i8 v[208:211], a[26:27], v[134:135], v[208:211]// 000000009BDC: D3D700D0 0F430D1A
	v_mfma_i32_16x16x32_i8 v[212:215], a[24:25], v[164:165], v[212:215]// 000000009BE4: D3D700D4 0F534918
	v_mfma_i32_16x16x32_i8 v[212:215], a[26:27], v[166:167], v[212:215]// 000000009BEC: D3D700D4 0F534D1A
	v_mfma_i32_16x16x32_i8 v[216:219], a[28:29], v[132:133], v[216:219]// 000000009BF4: D3D700D8 0F63091C
	buffer_load_dwordx4 a[156:159], v45, s[12:15], 0 offen     // 000000009BFC: E05C1000 80839C2D
	s_add_u32 s12, s78, s12                                    // 000000009C04: 800C0C4E
	s_addc_u32 s13, 0, s13                                     // 000000009C08: 820D0D80
	v_mfma_i32_16x16x32_i8 v[216:219], a[30:31], v[134:135], v[216:219]// 000000009C0C: D3D700D8 0F630D1E
	v_mfma_i32_16x16x32_i8 v[220:223], a[28:29], v[164:165], v[220:223]// 000000009C14: D3D700DC 0F73491C
	v_mfma_i32_16x16x32_i8 v[220:223], a[30:31], v[166:167], v[220:223]// 000000009C1C: D3D700DC 0F734D1E
	s_waitcnt vmcnt(45)                                        // 000000009C24: BF8C8F7D
	v_mfma_i32_16x16x32_i8 v[192:195], a[32:33], v[136:137], v[192:195]// 000000009C28: D3D700C0 0F031120
	buffer_load_dwordx4 a[160:163], v42, s[12:15], 0 offen     // 000000009C30: E05C1000 8083A02A
	v_mfma_i32_16x16x32_i8 v[192:195], a[34:35], v[138:139], v[192:195]// 000000009C38: D3D700C0 0F031522
	v_mfma_i32_16x16x32_i8 v[196:199], a[32:33], v[168:169], v[196:199]// 000000009C40: D3D700C4 0F135120
	v_mfma_i32_16x16x32_i8 v[196:199], a[34:35], v[170:171], v[196:199]// 000000009C48: D3D700C4 0F135522
	v_mfma_i32_16x16x32_i8 v[200:203], a[36:37], v[136:137], v[200:203]// 000000009C50: D3D700C8 0F231124
	buffer_load_dwordx4 a[164:167], v43, s[12:15], 0 offen     // 000000009C58: E05C1000 8083A42B
	v_mfma_i32_16x16x32_i8 v[200:203], a[38:39], v[138:139], v[200:203]// 000000009C60: D3D700C8 0F231526
	v_mfma_i32_16x16x32_i8 v[204:207], a[36:37], v[168:169], v[204:207]// 000000009C68: D3D700CC 0F335124
	v_mfma_i32_16x16x32_i8 v[204:207], a[38:39], v[170:171], v[204:207]// 000000009C70: D3D700CC 0F335526
	v_mfma_i32_16x16x32_i8 v[208:211], a[40:41], v[136:137], v[208:211]// 000000009C78: D3D700D0 0F431128
	buffer_load_dwordx4 a[168:171], v44, s[12:15], 0 offen     // 000000009C80: E05C1000 8083A82C
	v_mfma_i32_16x16x32_i8 v[208:211], a[42:43], v[138:139], v[208:211]// 000000009C88: D3D700D0 0F43152A
	v_mfma_i32_16x16x32_i8 v[212:215], a[40:41], v[168:169], v[212:215]// 000000009C90: D3D700D4 0F535128
	v_mfma_i32_16x16x32_i8 v[212:215], a[42:43], v[170:171], v[212:215]// 000000009C98: D3D700D4 0F53552A
	v_mfma_i32_16x16x32_i8 v[216:219], a[44:45], v[136:137], v[216:219]// 000000009CA0: D3D700D8 0F63112C
	buffer_load_dwordx4 a[172:175], v45, s[12:15], 0 offen     // 000000009CA8: E05C1000 8083AC2D
	s_add_u32 s12, s78, s12                                    // 000000009CB0: 800C0C4E
	s_addc_u32 s13, 0, s13                                     // 000000009CB4: 820D0D80
	v_mfma_i32_16x16x32_i8 v[216:219], a[46:47], v[138:139], v[216:219]// 000000009CB8: D3D700D8 0F63152E
	v_mfma_i32_16x16x32_i8 v[220:223], a[44:45], v[168:169], v[220:223]// 000000009CC0: D3D700DC 0F73512C
	v_mfma_i32_16x16x32_i8 v[220:223], a[46:47], v[170:171], v[220:223]// 000000009CC8: D3D700DC 0F73552E
	s_waitcnt vmcnt(45)                                        // 000000009CD0: BF8C8F7D
	v_mfma_i32_16x16x32_i8 v[192:195], a[48:49], v[140:141], v[192:195]// 000000009CD4: D3D700C0 0F031930
	buffer_load_dwordx4 a[176:179], v42, s[12:15], 0 offen     // 000000009CDC: E05C1000 8083B02A
	v_mfma_i32_16x16x32_i8 v[192:195], a[50:51], v[142:143], v[192:195]// 000000009CE4: D3D700C0 0F031D32
	v_mfma_i32_16x16x32_i8 v[196:199], a[48:49], v[172:173], v[196:199]// 000000009CEC: D3D700C4 0F135930
	v_mfma_i32_16x16x32_i8 v[196:199], a[50:51], v[174:175], v[196:199]// 000000009CF4: D3D700C4 0F135D32
	v_mfma_i32_16x16x32_i8 v[200:203], a[52:53], v[140:141], v[200:203]// 000000009CFC: D3D700C8 0F231934
	buffer_load_dwordx4 a[180:183], v43, s[12:15], 0 offen     // 000000009D04: E05C1000 8083B42B
	v_mfma_i32_16x16x32_i8 v[200:203], a[54:55], v[142:143], v[200:203]// 000000009D0C: D3D700C8 0F231D36
	v_mfma_i32_16x16x32_i8 v[204:207], a[52:53], v[172:173], v[204:207]// 000000009D14: D3D700CC 0F335934
	v_mfma_i32_16x16x32_i8 v[204:207], a[54:55], v[174:175], v[204:207]// 000000009D1C: D3D700CC 0F335D36
	v_mfma_i32_16x16x32_i8 v[208:211], a[56:57], v[140:141], v[208:211]// 000000009D24: D3D700D0 0F431938
	buffer_load_dwordx4 a[184:187], v44, s[12:15], 0 offen     // 000000009D2C: E05C1000 8083B82C
	v_mfma_i32_16x16x32_i8 v[208:211], a[58:59], v[142:143], v[208:211]// 000000009D34: D3D700D0 0F431D3A
	v_mfma_i32_16x16x32_i8 v[212:215], a[56:57], v[172:173], v[212:215]// 000000009D3C: D3D700D4 0F535938
	v_mfma_i32_16x16x32_i8 v[212:215], a[58:59], v[174:175], v[212:215]// 000000009D44: D3D700D4 0F535D3A
	v_mfma_i32_16x16x32_i8 v[216:219], a[60:61], v[140:141], v[216:219]// 000000009D4C: D3D700D8 0F63193C
	buffer_load_dwordx4 a[188:191], v45, s[12:15], 0 offen     // 000000009D54: E05C1000 8083BC2D
	s_add_u32 s12, s78, s12                                    // 000000009D5C: 800C0C4E
	s_addc_u32 s13, 0, s13                                     // 000000009D60: 820D0D80
	v_mfma_i32_16x16x32_i8 v[216:219], a[62:63], v[142:143], v[216:219]// 000000009D64: D3D700D8 0F631D3E
	v_mfma_i32_16x16x32_i8 v[220:223], a[60:61], v[172:173], v[220:223]// 000000009D6C: D3D700DC 0F73593C
	v_mfma_i32_16x16x32_i8 v[220:223], a[62:63], v[174:175], v[220:223]// 000000009D74: D3D700DC 0F735D3E
	s_waitcnt vmcnt(45)                                        // 000000009D7C: BF8C8F7D
	v_mfma_i32_16x16x32_i8 v[192:195], a[64:65], v[144:145], v[192:195]// 000000009D80: D3D700C0 0F032140
	buffer_load_dwordx4 a[192:195], v42, s[12:15], 0 offen     // 000000009D88: E05C1000 8083C02A
	v_mfma_i32_16x16x32_i8 v[192:195], a[66:67], v[146:147], v[192:195]// 000000009D90: D3D700C0 0F032542
	v_mfma_i32_16x16x32_i8 v[196:199], a[64:65], v[176:177], v[196:199]// 000000009D98: D3D700C4 0F136140
	v_mfma_i32_16x16x32_i8 v[196:199], a[66:67], v[178:179], v[196:199]// 000000009DA0: D3D700C4 0F136542
	v_mfma_i32_16x16x32_i8 v[200:203], a[68:69], v[144:145], v[200:203]// 000000009DA8: D3D700C8 0F232144
	buffer_load_dwordx4 a[196:199], v43, s[12:15], 0 offen     // 000000009DB0: E05C1000 8083C42B
	v_mfma_i32_16x16x32_i8 v[200:203], a[70:71], v[146:147], v[200:203]// 000000009DB8: D3D700C8 0F232546
	v_mfma_i32_16x16x32_i8 v[204:207], a[68:69], v[176:177], v[204:207]// 000000009DC0: D3D700CC 0F336144
	v_mfma_i32_16x16x32_i8 v[204:207], a[70:71], v[178:179], v[204:207]// 000000009DC8: D3D700CC 0F336546
	v_mfma_i32_16x16x32_i8 v[208:211], a[72:73], v[144:145], v[208:211]// 000000009DD0: D3D700D0 0F432148
	buffer_load_dwordx4 a[200:203], v44, s[12:15], 0 offen     // 000000009DD8: E05C1000 8083C82C
	v_mfma_i32_16x16x32_i8 v[208:211], a[74:75], v[146:147], v[208:211]// 000000009DE0: D3D700D0 0F43254A
	v_mfma_i32_16x16x32_i8 v[212:215], a[72:73], v[176:177], v[212:215]// 000000009DE8: D3D700D4 0F536148
	v_mfma_i32_16x16x32_i8 v[212:215], a[74:75], v[178:179], v[212:215]// 000000009DF0: D3D700D4 0F53654A
	v_mfma_i32_16x16x32_i8 v[216:219], a[76:77], v[144:145], v[216:219]// 000000009DF8: D3D700D8 0F63214C
	buffer_load_dwordx4 a[204:207], v45, s[12:15], 0 offen     // 000000009E00: E05C1000 8083CC2D
	s_add_u32 s12, s78, s12                                    // 000000009E08: 800C0C4E
	s_addc_u32 s13, 0, s13                                     // 000000009E0C: 820D0D80
	v_mfma_i32_16x16x32_i8 v[216:219], a[78:79], v[146:147], v[216:219]// 000000009E10: D3D700D8 0F63254E
	v_mfma_i32_16x16x32_i8 v[220:223], a[76:77], v[176:177], v[220:223]// 000000009E18: D3D700DC 0F73614C
	v_mfma_i32_16x16x32_i8 v[220:223], a[78:79], v[178:179], v[220:223]// 000000009E20: D3D700DC 0F73654E
	s_waitcnt vmcnt(45)                                        // 000000009E28: BF8C8F7D
	v_mfma_i32_16x16x32_i8 v[192:195], a[80:81], v[148:149], v[192:195]// 000000009E2C: D3D700C0 0F032950
	buffer_load_dwordx4 a[208:211], v42, s[12:15], 0 offen     // 000000009E34: E05C1000 8083D02A
	v_mfma_i32_16x16x32_i8 v[192:195], a[82:83], v[150:151], v[192:195]// 000000009E3C: D3D700C0 0F032D52
	v_mfma_i32_16x16x32_i8 v[196:199], a[80:81], v[180:181], v[196:199]// 000000009E44: D3D700C4 0F136950
	v_mfma_i32_16x16x32_i8 v[196:199], a[82:83], v[182:183], v[196:199]// 000000009E4C: D3D700C4 0F136D52
	v_mfma_i32_16x16x32_i8 v[200:203], a[84:85], v[148:149], v[200:203]// 000000009E54: D3D700C8 0F232954
	buffer_load_dwordx4 a[212:215], v43, s[12:15], 0 offen     // 000000009E5C: E05C1000 8083D42B
	v_mfma_i32_16x16x32_i8 v[200:203], a[86:87], v[150:151], v[200:203]// 000000009E64: D3D700C8 0F232D56
	v_mfma_i32_16x16x32_i8 v[204:207], a[84:85], v[180:181], v[204:207]// 000000009E6C: D3D700CC 0F336954
	v_mfma_i32_16x16x32_i8 v[204:207], a[86:87], v[182:183], v[204:207]// 000000009E74: D3D700CC 0F336D56
	v_mfma_i32_16x16x32_i8 v[208:211], a[88:89], v[148:149], v[208:211]// 000000009E7C: D3D700D0 0F432958
	buffer_load_dwordx4 a[216:219], v44, s[12:15], 0 offen     // 000000009E84: E05C1000 8083D82C
	v_mfma_i32_16x16x32_i8 v[208:211], a[90:91], v[150:151], v[208:211]// 000000009E8C: D3D700D0 0F432D5A
	v_mfma_i32_16x16x32_i8 v[212:215], a[88:89], v[180:181], v[212:215]// 000000009E94: D3D700D4 0F536958
	v_mfma_i32_16x16x32_i8 v[212:215], a[90:91], v[182:183], v[212:215]// 000000009E9C: D3D700D4 0F536D5A
	v_mfma_i32_16x16x32_i8 v[216:219], a[92:93], v[148:149], v[216:219]// 000000009EA4: D3D700D8 0F63295C
	buffer_load_dwordx4 a[220:223], v45, s[12:15], 0 offen     // 000000009EAC: E05C1000 8083DC2D
	s_add_u32 s12, s78, s12                                    // 000000009EB4: 800C0C4E
	s_addc_u32 s13, 0, s13                                     // 000000009EB8: 820D0D80
	v_mfma_i32_16x16x32_i8 v[216:219], a[94:95], v[150:151], v[216:219]// 000000009EBC: D3D700D8 0F632D5E
	v_mfma_i32_16x16x32_i8 v[220:223], a[92:93], v[180:181], v[220:223]// 000000009EC4: D3D700DC 0F73695C
	v_mfma_i32_16x16x32_i8 v[220:223], a[94:95], v[182:183], v[220:223]// 000000009ECC: D3D700DC 0F736D5E
	s_waitcnt vmcnt(45)                                        // 000000009ED4: BF8C8F7D
	v_mfma_i32_16x16x32_i8 v[192:195], a[96:97], v[152:153], v[192:195]// 000000009ED8: D3D700C0 0F033160
	buffer_load_dwordx4 a[224:227], v42, s[12:15], 0 offen     // 000000009EE0: E05C1000 8083E02A
	v_mfma_i32_16x16x32_i8 v[192:195], a[98:99], v[154:155], v[192:195]// 000000009EE8: D3D700C0 0F033562
	v_mfma_i32_16x16x32_i8 v[196:199], a[96:97], v[184:185], v[196:199]// 000000009EF0: D3D700C4 0F137160
	v_mfma_i32_16x16x32_i8 v[196:199], a[98:99], v[186:187], v[196:199]// 000000009EF8: D3D700C4 0F137562
	v_mfma_i32_16x16x32_i8 v[200:203], a[100:101], v[152:153], v[200:203]// 000000009F00: D3D700C8 0F233164
	buffer_load_dwordx4 a[228:231], v43, s[12:15], 0 offen     // 000000009F08: E05C1000 8083E42B
	v_mfma_i32_16x16x32_i8 v[200:203], a[102:103], v[154:155], v[200:203]// 000000009F10: D3D700C8 0F233566
	v_mfma_i32_16x16x32_i8 v[204:207], a[100:101], v[184:185], v[204:207]// 000000009F18: D3D700CC 0F337164
	v_mfma_i32_16x16x32_i8 v[204:207], a[102:103], v[186:187], v[204:207]// 000000009F20: D3D700CC 0F337566
	v_mfma_i32_16x16x32_i8 v[208:211], a[104:105], v[152:153], v[208:211]// 000000009F28: D3D700D0 0F433168
	buffer_load_dwordx4 a[232:235], v44, s[12:15], 0 offen     // 000000009F30: E05C1000 8083E82C
	v_mfma_i32_16x16x32_i8 v[208:211], a[106:107], v[154:155], v[208:211]// 000000009F38: D3D700D0 0F43356A
	v_mfma_i32_16x16x32_i8 v[212:215], a[104:105], v[184:185], v[212:215]// 000000009F40: D3D700D4 0F537168
	v_mfma_i32_16x16x32_i8 v[212:215], a[106:107], v[186:187], v[212:215]// 000000009F48: D3D700D4 0F53756A
	v_mfma_i32_16x16x32_i8 v[216:219], a[108:109], v[152:153], v[216:219]// 000000009F50: D3D700D8 0F63316C
	buffer_load_dwordx4 a[236:239], v45, s[12:15], 0 offen     // 000000009F58: E05C1000 8083EC2D
	s_add_u32 s12, s78, s12                                    // 000000009F60: 800C0C4E
	s_addc_u32 s13, 0, s13                                     // 000000009F64: 820D0D80
	v_mfma_i32_16x16x32_i8 v[216:219], a[110:111], v[154:155], v[216:219]// 000000009F68: D3D700D8 0F63356E
	v_mfma_i32_16x16x32_i8 v[220:223], a[108:109], v[184:185], v[220:223]// 000000009F70: D3D700DC 0F73716C
	v_mfma_i32_16x16x32_i8 v[220:223], a[110:111], v[186:187], v[220:223]// 000000009F78: D3D700DC 0F73756E
	s_waitcnt vmcnt(44)                                        // 000000009F80: BF8C8F7C
	v_mfma_i32_16x16x32_i8 v[192:195], a[112:113], v[156:157], v[192:195]// 000000009F84: D3D700C0 0F033970
	buffer_load_dwordx4 a[240:243], v42, s[12:15], 0 offen     // 000000009F8C: E05C1000 8083F02A
	v_mfma_i32_16x16x32_i8 v[192:195], a[114:115], v[158:159], v[192:195]// 000000009F94: D3D700C0 0F033D72
	v_mfma_i32_16x16x32_i8 v[196:199], a[112:113], v[188:189], v[196:199]// 000000009F9C: D3D700C4 0F137970
	buffer_load_dword v13, v5, s[16:19], 0 offen               // 000000009FA4: E0501000 80040D05
	v_mfma_i32_16x16x32_i8 v[196:199], a[114:115], v[190:191], v[196:199]// 000000009FAC: D3D700C4 0F137D72
	v_mfma_i32_16x16x32_i8 v[200:203], a[116:117], v[156:157], v[200:203]// 000000009FB4: D3D700C8 0F233974
	buffer_load_dwordx4 a[244:247], v43, s[12:15], 0 offen     // 000000009FBC: E05C1000 8083F42B
	v_mfma_i32_16x16x32_i8 v[200:203], a[118:119], v[158:159], v[200:203]// 000000009FC4: D3D700C8 0F233D76
	v_mfma_i32_16x16x32_i8 v[204:207], a[116:117], v[188:189], v[204:207]// 000000009FCC: D3D700CC 0F337974
	v_mfma_i32_16x16x32_i8 v[204:207], a[118:119], v[190:191], v[204:207]// 000000009FD4: D3D700CC 0F337D76
	v_mfma_i32_16x16x32_i8 v[208:211], a[120:121], v[156:157], v[208:211]// 000000009FDC: D3D700D0 0F433978
	buffer_load_dwordx4 a[248:251], v44, s[12:15], 0 offen     // 000000009FE4: E05C1000 8083F82C
	v_mfma_i32_16x16x32_i8 v[208:211], a[122:123], v[158:159], v[208:211]// 000000009FEC: D3D700D0 0F433D7A
	v_mfma_i32_16x16x32_i8 v[212:215], a[120:121], v[188:189], v[212:215]// 000000009FF4: D3D700D4 0F537978
	v_mfma_i32_16x16x32_i8 v[212:215], a[122:123], v[190:191], v[212:215]// 000000009FFC: D3D700D4 0F537D7A
	v_mfma_i32_16x16x32_i8 v[216:219], a[124:125], v[156:157], v[216:219]// 00000000A004: D3D700D8 0F63397C
	buffer_load_dwordx4 a[252:255], v45, s[12:15], 0 offen     // 00000000A00C: E05C1000 8083FC2D
	v_mfma_i32_16x16x32_i8 v[216:219], a[126:127], v[158:159], v[216:219]// 00000000A014: D3D700D8 0F633D7E
	v_mfma_i32_16x16x32_i8 v[220:223], a[124:125], v[188:189], v[220:223]// 00000000A01C: D3D700DC 0F73797C
	v_mfma_i32_16x16x32_i8 v[220:223], a[126:127], v[190:191], v[220:223]// 00000000A024: D3D700DC 0F737D7E
	s_add_u32 s60, 0x200, s80                                  // 00000000A02C: 803C50FF 00000200
	s_cmp_lt_u32 s60, s81                                      // 00000000A034: BF0A513C
	s_cselect_b32 s56, s56, 0                                  // 00000000A038: 85388038
	s_cselect_b32 s78, s78, 0                                  // 00000000A03C: 854E804E
	s_cselect_b32 s79, s79, 0                                  // 00000000A040: 854F804F
	s_add_u32 s12, s56, s12                                    // 00000000A044: 800C0C38
	s_addc_u32 s13, 0, s13                                     // 00000000A048: 820D0D80
	s_add_u32 s16, s79, s16                                    // 00000000A04C: 8010104F
	s_addc_u32 s17, 0, s17                                     // 00000000A050: 82111180
	v_cvt_f32_i32_e32 v192, v192                               // 00000000A054: 7F800BC0
	v_cvt_f32_i32_e32 v193, v193                               // 00000000A058: 7F820BC1
	v_cvt_f32_i32_e32 v194, v194                               // 00000000A05C: 7F840BC2
	v_cvt_f32_i32_e32 v195, v195                               // 00000000A060: 7F860BC3
	v_mul_f32_e32 v192, v24, v192                              // 00000000A064: 0B818118
	v_mul_f32_e32 v193, v24, v193                              // 00000000A068: 0B838318
	v_mul_f32_e32 v194, v24, v194                              // 00000000A06C: 0B858518
	v_mul_f32_e32 v195, v24, v195                              // 00000000A070: 0B878718
	v_mul_f32_dpp v192, v12, v192 row_newbcast:0 row_mask:0xf bank_mask:0xf// 00000000A074: 0B8180FA FF01500C
	v_mul_f32_dpp v193, v12, v193 row_newbcast:1 row_mask:0xf bank_mask:0xf// 00000000A07C: 0B8382FA FF01510C
	v_mul_f32_dpp v194, v12, v194 row_newbcast:2 row_mask:0xf bank_mask:0xf// 00000000A084: 0B8584FA FF01520C
	v_mul_f32_dpp v195, v12, v195 row_newbcast:3 row_mask:0xf bank_mask:0xf// 00000000A08C: 0B8786FA FF01530C
	v_mul_f32_e32 v192, v20, v192                              // 00000000A094: 0B818114
	v_mul_f32_e32 v193, v20, v193                              // 00000000A098: 0B838314
	v_mul_f32_e32 v194, v20, v194                              // 00000000A09C: 0B858514
	v_mul_f32_e32 v195, v20, v195                              // 00000000A0A0: 0B878714
	v_cvt_f32_i32_e32 v196, v196                               // 00000000A0A4: 7F880BC4
	v_cvt_f32_i32_e32 v197, v197                               // 00000000A0A8: 7F8A0BC5
	v_cvt_f32_i32_e32 v198, v198                               // 00000000A0AC: 7F8C0BC6
	v_cvt_f32_i32_e32 v199, v199                               // 00000000A0B0: 7F8E0BC7
	v_mul_f32_e32 v196, v25, v196                              // 00000000A0B4: 0B898919
	v_mul_f32_e32 v197, v25, v197                              // 00000000A0B8: 0B8B8B19
	v_mul_f32_e32 v198, v25, v198                              // 00000000A0BC: 0B8D8D19
	v_mul_f32_e32 v199, v25, v199                              // 00000000A0C0: 0B8F8F19
	v_mul_f32_dpp v196, v12, v196 row_newbcast:0 row_mask:0xf bank_mask:0xf// 00000000A0C4: 0B8988FA FF01500C
	v_mul_f32_dpp v197, v12, v197 row_newbcast:1 row_mask:0xf bank_mask:0xf// 00000000A0CC: 0B8B8AFA FF01510C
	v_mul_f32_dpp v198, v12, v198 row_newbcast:2 row_mask:0xf bank_mask:0xf// 00000000A0D4: 0B8D8CFA FF01520C
	v_mul_f32_dpp v199, v12, v199 row_newbcast:3 row_mask:0xf bank_mask:0xf// 00000000A0DC: 0B8F8EFA FF01530C
	v_mul_f32_e32 v196, v21, v196                              // 00000000A0E4: 0B898915
	v_mul_f32_e32 v197, v21, v197                              // 00000000A0E8: 0B8B8B15
	v_mul_f32_e32 v198, v21, v198                              // 00000000A0EC: 0B8D8D15
	v_mul_f32_e32 v199, v21, v199                              // 00000000A0F0: 0B8F8F15
	v_cvt_f32_i32_e32 v200, v200                               // 00000000A0F4: 7F900BC8
	v_cvt_f32_i32_e32 v201, v201                               // 00000000A0F8: 7F920BC9
	v_cvt_f32_i32_e32 v202, v202                               // 00000000A0FC: 7F940BCA
	v_cvt_f32_i32_e32 v203, v203                               // 00000000A100: 7F960BCB
	v_mul_f32_e32 v200, v24, v200                              // 00000000A104: 0B919118
	v_mul_f32_e32 v201, v24, v201                              // 00000000A108: 0B939318
	v_mul_f32_e32 v202, v24, v202                              // 00000000A10C: 0B959518
	v_mul_f32_e32 v203, v24, v203                              // 00000000A110: 0B979718
	v_mul_f32_dpp v200, v12, v200 row_newbcast:4 row_mask:0xf bank_mask:0xf// 00000000A114: 0B9190FA FF01540C
	v_mul_f32_dpp v201, v12, v201 row_newbcast:5 row_mask:0xf bank_mask:0xf// 00000000A11C: 0B9392FA FF01550C
	v_mul_f32_dpp v202, v12, v202 row_newbcast:6 row_mask:0xf bank_mask:0xf// 00000000A124: 0B9594FA FF01560C
	v_mul_f32_dpp v203, v12, v203 row_newbcast:7 row_mask:0xf bank_mask:0xf// 00000000A12C: 0B9796FA FF01570C
	v_mul_f32_e32 v200, v20, v200                              // 00000000A134: 0B919114
	v_mul_f32_e32 v201, v20, v201                              // 00000000A138: 0B939314
	v_mul_f32_e32 v202, v20, v202                              // 00000000A13C: 0B959514
	v_mul_f32_e32 v203, v20, v203                              // 00000000A140: 0B979714
	v_cvt_f32_i32_e32 v204, v204                               // 00000000A144: 7F980BCC
	v_cvt_f32_i32_e32 v205, v205                               // 00000000A148: 7F9A0BCD
	v_cvt_f32_i32_e32 v206, v206                               // 00000000A14C: 7F9C0BCE
	v_cvt_f32_i32_e32 v207, v207                               // 00000000A150: 7F9E0BCF
	v_mul_f32_e32 v204, v25, v204                              // 00000000A154: 0B999919
	v_mul_f32_e32 v205, v25, v205                              // 00000000A158: 0B9B9B19
	v_mul_f32_e32 v206, v25, v206                              // 00000000A15C: 0B9D9D19
	v_mul_f32_e32 v207, v25, v207                              // 00000000A160: 0B9F9F19
	v_mul_f32_dpp v204, v12, v204 row_newbcast:4 row_mask:0xf bank_mask:0xf// 00000000A164: 0B9998FA FF01540C
	v_mul_f32_dpp v205, v12, v205 row_newbcast:5 row_mask:0xf bank_mask:0xf// 00000000A16C: 0B9B9AFA FF01550C
	v_mul_f32_dpp v206, v12, v206 row_newbcast:6 row_mask:0xf bank_mask:0xf// 00000000A174: 0B9D9CFA FF01560C
	v_mul_f32_dpp v207, v12, v207 row_newbcast:7 row_mask:0xf bank_mask:0xf// 00000000A17C: 0B9F9EFA FF01570C
	v_mul_f32_e32 v204, v21, v204                              // 00000000A184: 0B999915
	v_mul_f32_e32 v205, v21, v205                              // 00000000A188: 0B9B9B15
	v_mul_f32_e32 v206, v21, v206                              // 00000000A18C: 0B9D9D15
	v_mul_f32_e32 v207, v21, v207                              // 00000000A190: 0B9F9F15
	v_cvt_f32_i32_e32 v208, v208                               // 00000000A194: 7FA00BD0
	v_cvt_f32_i32_e32 v209, v209                               // 00000000A198: 7FA20BD1
	v_cvt_f32_i32_e32 v210, v210                               // 00000000A19C: 7FA40BD2
	v_cvt_f32_i32_e32 v211, v211                               // 00000000A1A0: 7FA60BD3
	v_mul_f32_e32 v208, v24, v208                              // 00000000A1A4: 0BA1A118
	v_mul_f32_e32 v209, v24, v209                              // 00000000A1A8: 0BA3A318
	v_mul_f32_e32 v210, v24, v210                              // 00000000A1AC: 0BA5A518
	v_mul_f32_e32 v211, v24, v211                              // 00000000A1B0: 0BA7A718
	v_mul_f32_dpp v208, v12, v208 row_newbcast:8 row_mask:0xf bank_mask:0xf// 00000000A1B4: 0BA1A0FA FF01580C
	v_mul_f32_dpp v209, v12, v209 row_newbcast:9 row_mask:0xf bank_mask:0xf// 00000000A1BC: 0BA3A2FA FF01590C
	v_mul_f32_dpp v210, v12, v210 row_newbcast:10 row_mask:0xf bank_mask:0xf// 00000000A1C4: 0BA5A4FA FF015A0C
	v_mul_f32_dpp v211, v12, v211 row_newbcast:11 row_mask:0xf bank_mask:0xf// 00000000A1CC: 0BA7A6FA FF015B0C
	v_mul_f32_e32 v208, v20, v208                              // 00000000A1D4: 0BA1A114
	v_mul_f32_e32 v209, v20, v209                              // 00000000A1D8: 0BA3A314
	v_mul_f32_e32 v210, v20, v210                              // 00000000A1DC: 0BA5A514
	v_mul_f32_e32 v211, v20, v211                              // 00000000A1E0: 0BA7A714
	v_cvt_f32_i32_e32 v212, v212                               // 00000000A1E4: 7FA80BD4
	v_cvt_f32_i32_e32 v213, v213                               // 00000000A1E8: 7FAA0BD5
	v_cvt_f32_i32_e32 v214, v214                               // 00000000A1EC: 7FAC0BD6
	v_cvt_f32_i32_e32 v215, v215                               // 00000000A1F0: 7FAE0BD7
	v_mul_f32_e32 v212, v25, v212                              // 00000000A1F4: 0BA9A919
	v_mul_f32_e32 v213, v25, v213                              // 00000000A1F8: 0BABAB19
	v_mul_f32_e32 v214, v25, v214                              // 00000000A1FC: 0BADAD19
	v_mul_f32_e32 v215, v25, v215                              // 00000000A200: 0BAFAF19
	v_mul_f32_dpp v212, v12, v212 row_newbcast:8 row_mask:0xf bank_mask:0xf// 00000000A204: 0BA9A8FA FF01580C
	v_mul_f32_dpp v213, v12, v213 row_newbcast:9 row_mask:0xf bank_mask:0xf// 00000000A20C: 0BABAAFA FF01590C
	v_mul_f32_dpp v214, v12, v214 row_newbcast:10 row_mask:0xf bank_mask:0xf// 00000000A214: 0BADACFA FF015A0C
	v_mul_f32_dpp v215, v12, v215 row_newbcast:11 row_mask:0xf bank_mask:0xf// 00000000A21C: 0BAFAEFA FF015B0C
	v_mul_f32_e32 v212, v21, v212                              // 00000000A224: 0BA9A915
	v_mul_f32_e32 v213, v21, v213                              // 00000000A228: 0BABAB15
	v_mul_f32_e32 v214, v21, v214                              // 00000000A22C: 0BADAD15
	v_mul_f32_e32 v215, v21, v215                              // 00000000A230: 0BAFAF15
	v_cvt_f32_i32_e32 v216, v216                               // 00000000A234: 7FB00BD8
	v_cvt_f32_i32_e32 v217, v217                               // 00000000A238: 7FB20BD9
	v_cvt_f32_i32_e32 v218, v218                               // 00000000A23C: 7FB40BDA
	v_cvt_f32_i32_e32 v219, v219                               // 00000000A240: 7FB60BDB
	v_mul_f32_e32 v216, v24, v216                              // 00000000A244: 0BB1B118
	v_mul_f32_e32 v217, v24, v217                              // 00000000A248: 0BB3B318
	v_mul_f32_e32 v218, v24, v218                              // 00000000A24C: 0BB5B518
	v_mul_f32_e32 v219, v24, v219                              // 00000000A250: 0BB7B718
	v_mul_f32_dpp v216, v12, v216 row_newbcast:12 row_mask:0xf bank_mask:0xf// 00000000A254: 0BB1B0FA FF015C0C
	v_mul_f32_dpp v217, v12, v217 row_newbcast:13 row_mask:0xf bank_mask:0xf// 00000000A25C: 0BB3B2FA FF015D0C
	v_mul_f32_dpp v218, v12, v218 row_newbcast:14 row_mask:0xf bank_mask:0xf// 00000000A264: 0BB5B4FA FF015E0C
	v_mul_f32_dpp v219, v12, v219 row_newbcast:15 row_mask:0xf bank_mask:0xf// 00000000A26C: 0BB7B6FA FF015F0C
	v_mul_f32_e32 v216, v20, v216                              // 00000000A274: 0BB1B114
	v_mul_f32_e32 v217, v20, v217                              // 00000000A278: 0BB3B314
	v_mul_f32_e32 v218, v20, v218                              // 00000000A27C: 0BB5B514
	v_mul_f32_e32 v219, v20, v219                              // 00000000A280: 0BB7B714
	v_cvt_f32_i32_e32 v220, v220                               // 00000000A284: 7FB80BDC
	v_cvt_f32_i32_e32 v221, v221                               // 00000000A288: 7FBA0BDD
	v_cvt_f32_i32_e32 v222, v222                               // 00000000A28C: 7FBC0BDE
	v_cvt_f32_i32_e32 v223, v223                               // 00000000A290: 7FBE0BDF
	v_mul_f32_e32 v220, v25, v220                              // 00000000A294: 0BB9B919
	v_mul_f32_e32 v221, v25, v221                              // 00000000A298: 0BBBBB19
	v_mul_f32_e32 v222, v25, v222                              // 00000000A29C: 0BBDBD19
	v_mul_f32_e32 v223, v25, v223                              // 00000000A2A0: 0BBFBF19
	v_mul_f32_dpp v220, v12, v220 row_newbcast:12 row_mask:0xf bank_mask:0xf// 00000000A2A4: 0BB9B8FA FF015C0C
	v_mul_f32_dpp v221, v12, v221 row_newbcast:13 row_mask:0xf bank_mask:0xf// 00000000A2AC: 0BBBBAFA FF015D0C
	v_mul_f32_dpp v222, v12, v222 row_newbcast:14 row_mask:0xf bank_mask:0xf// 00000000A2B4: 0BBDBCFA FF015E0C
	v_mul_f32_dpp v223, v12, v223 row_newbcast:15 row_mask:0xf bank_mask:0xf// 00000000A2BC: 0BBFBEFA FF015F0C
	v_mul_f32_e32 v220, v21, v220                              // 00000000A2C4: 0BB9B915
	v_mul_f32_e32 v221, v21, v221                              // 00000000A2C8: 0BBBBB15
	v_mul_f32_e32 v222, v21, v222                              // 00000000A2CC: 0BBDBD15
	v_mul_f32_e32 v223, v21, v223                              // 00000000A2D0: 0BBFBF15
	v_cvt_pkrtz_f16_f32 v192, v192, v193                       // 00000000A2D4: D29600C0 000383C0
	v_cvt_pkrtz_f16_f32 v193, v194, v195                       // 00000000A2DC: D29600C1 000387C2
	v_cvt_pkrtz_f16_f32 v194, v196, v197                       // 00000000A2E4: D29600C2 00038BC4
	v_cvt_pkrtz_f16_f32 v195, v198, v199                       // 00000000A2EC: D29600C3 00038FC6
	v_cvt_pkrtz_f16_f32 v196, v200, v201                       // 00000000A2F4: D29600C4 000393C8
	v_cvt_pkrtz_f16_f32 v197, v202, v203                       // 00000000A2FC: D29600C5 000397CA
	v_cvt_pkrtz_f16_f32 v198, v204, v205                       // 00000000A304: D29600C6 00039BCC
	v_cvt_pkrtz_f16_f32 v199, v206, v207                       // 00000000A30C: D29600C7 00039FCE
	v_cvt_pkrtz_f16_f32 v200, v208, v209                       // 00000000A314: D29600C8 0003A3D0
	v_cvt_pkrtz_f16_f32 v201, v210, v211                       // 00000000A31C: D29600C9 0003A7D2
	v_cvt_pkrtz_f16_f32 v202, v212, v213                       // 00000000A324: D29600CA 0003ABD4
	v_cvt_pkrtz_f16_f32 v203, v214, v215                       // 00000000A32C: D29600CB 0003AFD6
	v_cvt_pkrtz_f16_f32 v204, v216, v217                       // 00000000A334: D29600CC 0003B3D8
	v_cvt_pkrtz_f16_f32 v205, v218, v219                       // 00000000A33C: D29600CD 0003B7DA
	v_cvt_pkrtz_f16_f32 v206, v220, v221                       // 00000000A344: D29600CE 0003BBDC
	v_cvt_pkrtz_f16_f32 v207, v222, v223                       // 00000000A34C: D29600CF 0003BFDE
	ds_write_b64 v3, v[192:193] offset:35072                   // 00000000A354: D89A8900 0000C003
	ds_write_b64 v3, v[194:195] offset:43776                   // 00000000A35C: D89AAB00 0000C203
	ds_write_b64 v3, v[196:197] offset:37248                   // 00000000A364: D89A9180 0000C403
	ds_write_b64 v3, v[198:199] offset:45952                   // 00000000A36C: D89AB380 0000C603
	ds_write_b64 v3, v[200:201] offset:39424                   // 00000000A374: D89A9A00 0000C803
	ds_write_b64 v3, v[202:203] offset:48128                   // 00000000A37C: D89ABC00 0000CA03
	ds_write_b64 v3, v[204:205] offset:41600                   // 00000000A384: D89AA280 0000CC03
	ds_write_b64 v3, v[206:207] offset:50304                   // 00000000A38C: D89AC480 0000CE03
	s_waitcnt lgkmcnt(0)                                       // 00000000A394: BF8CC07F
	s_barrier                                                  // 00000000A398: BF8A0000
	ds_read_b32 v64, v4 offset:35072                           // 00000000A39C: D86C8900 40000004
	ds_read_b32 v65, v4 offset:39424                           // 00000000A3A4: D86C9A00 41000004
	ds_read_b32 v66, v4 offset:35104                           // 00000000A3AC: D86C8920 42000004
	ds_read_b32 v67, v4 offset:39456                           // 00000000A3B4: D86C9A20 43000004
	ds_read_b32 v68, v4 offset:35136                           // 00000000A3BC: D86C8940 44000004
	ds_read_b32 v69, v4 offset:39488                           // 00000000A3C4: D86C9A40 45000004
	ds_read_b32 v70, v4 offset:35168                           // 00000000A3CC: D86C8960 46000004
	ds_read_b32 v71, v4 offset:39520                           // 00000000A3D4: D86C9A60 47000004
	ds_read_b32 v72, v4 offset:43776                           // 00000000A3DC: D86CAB00 48000004
	ds_read_b32 v73, v4 offset:48128                           // 00000000A3E4: D86CBC00 49000004
	ds_read_b32 v74, v4 offset:43808                           // 00000000A3EC: D86CAB20 4A000004
	ds_read_b32 v75, v4 offset:48160                           // 00000000A3F4: D86CBC20 4B000004
	ds_read_b32 v76, v4 offset:43840                           // 00000000A3FC: D86CAB40 4C000004
	ds_read_b32 v77, v4 offset:48192                           // 00000000A404: D86CBC40 4D000004
	ds_read_b32 v78, v4 offset:43872                           // 00000000A40C: D86CAB60 4E000004
	ds_read_b32 v79, v4 offset:48224                           // 00000000A414: D86CBC60 4F000004
	s_waitcnt lgkmcnt(0)                                       // 00000000A41C: BF8CC07F
	s_mov_b64 exec, s[20:21]                                   // 00000000A420: BEFE0114
	global_atomic_pk_add_f16 v80, v64, s[8:9]                  // 00000000A424: DD388000 00084050
	s_mov_b64 exec, s[36:37]                                   // 00000000A42C: BEFE0124
	s_mov_b64 exec, s[20:21]                                   // 00000000A430: BEFE0114
	global_atomic_pk_add_f16 v80, v65, s[8:9] offset:256       // 00000000A434: DD388100 00084150
	s_mov_b64 exec, s[36:37]                                   // 00000000A43C: BEFE0124
	s_mov_b64 exec, s[22:23]                                   // 00000000A440: BEFE0116
	global_atomic_pk_add_f16 v82, v66, s[8:9]                  // 00000000A444: DD388000 00084252
	s_mov_b64 exec, s[36:37]                                   // 00000000A44C: BEFE0124
	s_mov_b64 exec, s[22:23]                                   // 00000000A450: BEFE0116
	global_atomic_pk_add_f16 v82, v67, s[8:9] offset:256       // 00000000A454: DD388100 00084352
	s_mov_b64 exec, s[36:37]                                   // 00000000A45C: BEFE0124
	s_mov_b64 exec, s[24:25]                                   // 00000000A460: BEFE0118
	global_atomic_pk_add_f16 v84, v68, s[8:9]                  // 00000000A464: DD388000 00084454
	s_mov_b64 exec, s[36:37]                                   // 00000000A46C: BEFE0124
	s_mov_b64 exec, s[24:25]                                   // 00000000A470: BEFE0118
	global_atomic_pk_add_f16 v84, v69, s[8:9] offset:256       // 00000000A474: DD388100 00084554
	s_mov_b64 exec, s[36:37]                                   // 00000000A47C: BEFE0124
	s_mov_b64 exec, s[26:27]                                   // 00000000A480: BEFE011A
	global_atomic_pk_add_f16 v86, v70, s[8:9]                  // 00000000A484: DD388000 00084656
	s_mov_b64 exec, s[36:37]                                   // 00000000A48C: BEFE0124
	s_mov_b64 exec, s[26:27]                                   // 00000000A490: BEFE011A
	global_atomic_pk_add_f16 v86, v71, s[8:9] offset:256       // 00000000A494: DD388100 00084756
	s_mov_b64 exec, s[36:37]                                   // 00000000A49C: BEFE0124
	s_mov_b64 exec, s[28:29]                                   // 00000000A4A0: BEFE011C
	global_atomic_pk_add_f16 v88, v72, s[8:9]                  // 00000000A4A4: DD388000 00084858
	s_mov_b64 exec, s[36:37]                                   // 00000000A4AC: BEFE0124
	s_mov_b64 exec, s[28:29]                                   // 00000000A4B0: BEFE011C
	global_atomic_pk_add_f16 v88, v73, s[8:9] offset:256       // 00000000A4B4: DD388100 00084958
	s_mov_b64 exec, s[36:37]                                   // 00000000A4BC: BEFE0124
	s_mov_b64 exec, s[30:31]                                   // 00000000A4C0: BEFE011E
	global_atomic_pk_add_f16 v90, v74, s[8:9]                  // 00000000A4C4: DD388000 00084A5A
	s_mov_b64 exec, s[36:37]                                   // 00000000A4CC: BEFE0124
	s_mov_b64 exec, s[30:31]                                   // 00000000A4D0: BEFE011E
	global_atomic_pk_add_f16 v90, v75, s[8:9] offset:256       // 00000000A4D4: DD388100 00084B5A
	s_mov_b64 exec, s[36:37]                                   // 00000000A4DC: BEFE0124
	s_mov_b64 exec, s[32:33]                                   // 00000000A4E0: BEFE0120
	global_atomic_pk_add_f16 v92, v76, s[8:9]                  // 00000000A4E4: DD388000 00084C5C
	s_mov_b64 exec, s[36:37]                                   // 00000000A4EC: BEFE0124
	s_mov_b64 exec, s[32:33]                                   // 00000000A4F0: BEFE0120
	global_atomic_pk_add_f16 v92, v77, s[8:9] offset:256       // 00000000A4F4: DD388100 00084D5C
	s_mov_b64 exec, s[36:37]                                   // 00000000A4FC: BEFE0124
	s_mov_b64 exec, s[34:35]                                   // 00000000A500: BEFE0122
	global_atomic_pk_add_f16 v94, v78, s[8:9]                  // 00000000A504: DD388000 00084E5E
	s_mov_b64 exec, s[36:37]                                   // 00000000A50C: BEFE0124
	s_mov_b64 exec, s[34:35]                                   // 00000000A510: BEFE0122
	global_atomic_pk_add_f16 v94, v79, s[8:9] offset:256       // 00000000A514: DD388100 00084F5E
	s_mov_b64 exec, s[36:37]                                   // 00000000A51C: BEFE0124
	s_add_u32 s8, s59, s8                                      // 00000000A520: 8008083B
	s_addc_u32 s9, 0, s9                                       // 00000000A524: 82090980
	s_addk_i32 s80, 0x100                                      // 00000000A528: B7500100
	s_cmp_lt_i32 s80, s81                                      // 00000000A52C: BF045150
	s_cbranch_scc0 label_1185                                  // 00000000A530: BF84F3B8
	s_waitcnt vmcnt(45)                                        // 00000000A534: BF8C8F7D
	s_barrier                                                  // 00000000A538: BF8A0000
	v_mfma_i32_16x16x32_i8 v[224:227], a[128:129], v[128:129], 0// 00000000A53C: D3D700E0 0A030180
	buffer_load_dwordx4 a[0:3], v42, s[12:15], 0 offen         // 00000000A544: E05C1000 8083002A
	v_mfma_i32_16x16x32_i8 v[224:227], a[130:131], v[130:131], v[224:227]// 00000000A54C: D3D700E0 0F830582
	v_mfma_i32_16x16x32_i8 v[228:231], a[128:129], v[160:161], 0// 00000000A554: D3D700E4 0A034180
	v_mfma_i32_16x16x32_i8 v[228:231], a[130:131], v[162:163], v[228:231]// 00000000A55C: D3D700E4 0F934582
	v_mfma_i32_16x16x32_i8 v[232:235], a[132:133], v[128:129], 0// 00000000A564: D3D700E8 0A030184
	buffer_load_dwordx4 a[4:7], v43, s[12:15], 0 offen         // 00000000A56C: E05C1000 8083042B
	v_mfma_i32_16x16x32_i8 v[232:235], a[134:135], v[130:131], v[232:235]// 00000000A574: D3D700E8 0FA30586
	v_mfma_i32_16x16x32_i8 v[236:239], a[132:133], v[160:161], 0// 00000000A57C: D3D700EC 0A034184
	v_mfma_i32_16x16x32_i8 v[236:239], a[134:135], v[162:163], v[236:239]// 00000000A584: D3D700EC 0FB34586
	v_mfma_i32_16x16x32_i8 v[240:243], a[136:137], v[128:129], 0// 00000000A58C: D3D700F0 0A030188
	buffer_load_dwordx4 a[8:11], v44, s[12:15], 0 offen        // 00000000A594: E05C1000 8083082C
	v_mfma_i32_16x16x32_i8 v[240:243], a[138:139], v[130:131], v[240:243]// 00000000A59C: D3D700F0 0FC3058A
	v_mfma_i32_16x16x32_i8 v[244:247], a[136:137], v[160:161], 0// 00000000A5A4: D3D700F4 0A034188
	v_mfma_i32_16x16x32_i8 v[244:247], a[138:139], v[162:163], v[244:247]// 00000000A5AC: D3D700F4 0FD3458A
	v_mfma_i32_16x16x32_i8 v[248:251], a[140:141], v[128:129], 0// 00000000A5B4: D3D700F8 0A03018C
	buffer_load_dwordx4 a[12:15], v45, s[12:15], 0 offen       // 00000000A5BC: E05C1000 80830C2D
	s_add_u32 s12, s78, s12                                    // 00000000A5C4: 800C0C4E
	s_addc_u32 s13, 0, s13                                     // 00000000A5C8: 820D0D80
	v_mfma_i32_16x16x32_i8 v[248:251], a[142:143], v[130:131], v[248:251]// 00000000A5CC: D3D700F8 0FE3058E
	v_mfma_i32_16x16x32_i8 v[252:255], a[140:141], v[160:161], 0// 00000000A5D4: D3D700FC 0A03418C
	v_mfma_i32_16x16x32_i8 v[252:255], a[142:143], v[162:163], v[252:255]// 00000000A5DC: D3D700FC 0FF3458E
	s_waitcnt vmcnt(45)                                        // 00000000A5E4: BF8C8F7D
	v_mfma_i32_16x16x32_i8 v[224:227], a[144:145], v[132:133], v[224:227]// 00000000A5E8: D3D700E0 0F830990
	buffer_load_dwordx4 a[16:19], v42, s[12:15], 0 offen       // 00000000A5F0: E05C1000 8083102A
	v_mfma_i32_16x16x32_i8 v[224:227], a[146:147], v[134:135], v[224:227]// 00000000A5F8: D3D700E0 0F830D92
	v_mfma_i32_16x16x32_i8 v[228:231], a[144:145], v[164:165], v[228:231]// 00000000A600: D3D700E4 0F934990
	v_mfma_i32_16x16x32_i8 v[228:231], a[146:147], v[166:167], v[228:231]// 00000000A608: D3D700E4 0F934D92
	v_mfma_i32_16x16x32_i8 v[232:235], a[148:149], v[132:133], v[232:235]// 00000000A610: D3D700E8 0FA30994
	buffer_load_dwordx4 a[20:23], v43, s[12:15], 0 offen       // 00000000A618: E05C1000 8083142B
	v_mfma_i32_16x16x32_i8 v[232:235], a[150:151], v[134:135], v[232:235]// 00000000A620: D3D700E8 0FA30D96
	v_mfma_i32_16x16x32_i8 v[236:239], a[148:149], v[164:165], v[236:239]// 00000000A628: D3D700EC 0FB34994
	v_mfma_i32_16x16x32_i8 v[236:239], a[150:151], v[166:167], v[236:239]// 00000000A630: D3D700EC 0FB34D96
	v_mfma_i32_16x16x32_i8 v[240:243], a[152:153], v[132:133], v[240:243]// 00000000A638: D3D700F0 0FC30998
	buffer_load_dwordx4 a[24:27], v44, s[12:15], 0 offen       // 00000000A640: E05C1000 8083182C
	v_mfma_i32_16x16x32_i8 v[240:243], a[154:155], v[134:135], v[240:243]// 00000000A648: D3D700F0 0FC30D9A
	v_mfma_i32_16x16x32_i8 v[244:247], a[152:153], v[164:165], v[244:247]// 00000000A650: D3D700F4 0FD34998
	v_mfma_i32_16x16x32_i8 v[244:247], a[154:155], v[166:167], v[244:247]// 00000000A658: D3D700F4 0FD34D9A
	v_mfma_i32_16x16x32_i8 v[248:251], a[156:157], v[132:133], v[248:251]// 00000000A660: D3D700F8 0FE3099C
	buffer_load_dwordx4 a[28:31], v45, s[12:15], 0 offen       // 00000000A668: E05C1000 80831C2D
	s_add_u32 s12, s78, s12                                    // 00000000A670: 800C0C4E
	s_addc_u32 s13, 0, s13                                     // 00000000A674: 820D0D80
	v_mfma_i32_16x16x32_i8 v[248:251], a[158:159], v[134:135], v[248:251]// 00000000A678: D3D700F8 0FE30D9E
	v_mfma_i32_16x16x32_i8 v[252:255], a[156:157], v[164:165], v[252:255]// 00000000A680: D3D700FC 0FF3499C
	v_mfma_i32_16x16x32_i8 v[252:255], a[158:159], v[166:167], v[252:255]// 00000000A688: D3D700FC 0FF34D9E
	s_waitcnt vmcnt(45)                                        // 00000000A690: BF8C8F7D
	v_mfma_i32_16x16x32_i8 v[224:227], a[160:161], v[136:137], v[224:227]// 00000000A694: D3D700E0 0F8311A0
	buffer_load_dwordx4 a[32:35], v42, s[12:15], 0 offen       // 00000000A69C: E05C1000 8083202A
	v_mfma_i32_16x16x32_i8 v[224:227], a[162:163], v[138:139], v[224:227]// 00000000A6A4: D3D700E0 0F8315A2
	v_mfma_i32_16x16x32_i8 v[228:231], a[160:161], v[168:169], v[228:231]// 00000000A6AC: D3D700E4 0F9351A0
	v_mfma_i32_16x16x32_i8 v[228:231], a[162:163], v[170:171], v[228:231]// 00000000A6B4: D3D700E4 0F9355A2
	v_mfma_i32_16x16x32_i8 v[232:235], a[164:165], v[136:137], v[232:235]// 00000000A6BC: D3D700E8 0FA311A4
	buffer_load_dwordx4 a[36:39], v43, s[12:15], 0 offen       // 00000000A6C4: E05C1000 8083242B
	v_mfma_i32_16x16x32_i8 v[232:235], a[166:167], v[138:139], v[232:235]// 00000000A6CC: D3D700E8 0FA315A6
	v_mfma_i32_16x16x32_i8 v[236:239], a[164:165], v[168:169], v[236:239]// 00000000A6D4: D3D700EC 0FB351A4
	v_mfma_i32_16x16x32_i8 v[236:239], a[166:167], v[170:171], v[236:239]// 00000000A6DC: D3D700EC 0FB355A6
	v_mfma_i32_16x16x32_i8 v[240:243], a[168:169], v[136:137], v[240:243]// 00000000A6E4: D3D700F0 0FC311A8
	buffer_load_dwordx4 a[40:43], v44, s[12:15], 0 offen       // 00000000A6EC: E05C1000 8083282C
	v_mfma_i32_16x16x32_i8 v[240:243], a[170:171], v[138:139], v[240:243]// 00000000A6F4: D3D700F0 0FC315AA
	v_mfma_i32_16x16x32_i8 v[244:247], a[168:169], v[168:169], v[244:247]// 00000000A6FC: D3D700F4 0FD351A8
	v_mfma_i32_16x16x32_i8 v[244:247], a[170:171], v[170:171], v[244:247]// 00000000A704: D3D700F4 0FD355AA
	v_mfma_i32_16x16x32_i8 v[248:251], a[172:173], v[136:137], v[248:251]// 00000000A70C: D3D700F8 0FE311AC
	buffer_load_dwordx4 a[44:47], v45, s[12:15], 0 offen       // 00000000A714: E05C1000 80832C2D
	s_add_u32 s12, s78, s12                                    // 00000000A71C: 800C0C4E
	s_addc_u32 s13, 0, s13                                     // 00000000A720: 820D0D80
	v_mfma_i32_16x16x32_i8 v[248:251], a[174:175], v[138:139], v[248:251]// 00000000A724: D3D700F8 0FE315AE
	v_mfma_i32_16x16x32_i8 v[252:255], a[172:173], v[168:169], v[252:255]// 00000000A72C: D3D700FC 0FF351AC
	v_mfma_i32_16x16x32_i8 v[252:255], a[174:175], v[170:171], v[252:255]// 00000000A734: D3D700FC 0FF355AE
	s_waitcnt vmcnt(45)                                        // 00000000A73C: BF8C8F7D
	v_mfma_i32_16x16x32_i8 v[224:227], a[176:177], v[140:141], v[224:227]// 00000000A740: D3D700E0 0F8319B0
	buffer_load_dwordx4 a[48:51], v42, s[12:15], 0 offen       // 00000000A748: E05C1000 8083302A
	v_mfma_i32_16x16x32_i8 v[224:227], a[178:179], v[142:143], v[224:227]// 00000000A750: D3D700E0 0F831DB2
	v_mfma_i32_16x16x32_i8 v[228:231], a[176:177], v[172:173], v[228:231]// 00000000A758: D3D700E4 0F9359B0
	v_mfma_i32_16x16x32_i8 v[228:231], a[178:179], v[174:175], v[228:231]// 00000000A760: D3D700E4 0F935DB2
	v_mfma_i32_16x16x32_i8 v[232:235], a[180:181], v[140:141], v[232:235]// 00000000A768: D3D700E8 0FA319B4
	buffer_load_dwordx4 a[52:55], v43, s[12:15], 0 offen       // 00000000A770: E05C1000 8083342B
	v_mfma_i32_16x16x32_i8 v[232:235], a[182:183], v[142:143], v[232:235]// 00000000A778: D3D700E8 0FA31DB6
	v_mfma_i32_16x16x32_i8 v[236:239], a[180:181], v[172:173], v[236:239]// 00000000A780: D3D700EC 0FB359B4
	v_mfma_i32_16x16x32_i8 v[236:239], a[182:183], v[174:175], v[236:239]// 00000000A788: D3D700EC 0FB35DB6
	v_mfma_i32_16x16x32_i8 v[240:243], a[184:185], v[140:141], v[240:243]// 00000000A790: D3D700F0 0FC319B8
	buffer_load_dwordx4 a[56:59], v44, s[12:15], 0 offen       // 00000000A798: E05C1000 8083382C
	v_mfma_i32_16x16x32_i8 v[240:243], a[186:187], v[142:143], v[240:243]// 00000000A7A0: D3D700F0 0FC31DBA
	v_mfma_i32_16x16x32_i8 v[244:247], a[184:185], v[172:173], v[244:247]// 00000000A7A8: D3D700F4 0FD359B8
	v_mfma_i32_16x16x32_i8 v[244:247], a[186:187], v[174:175], v[244:247]// 00000000A7B0: D3D700F4 0FD35DBA
	v_mfma_i32_16x16x32_i8 v[248:251], a[188:189], v[140:141], v[248:251]// 00000000A7B8: D3D700F8 0FE319BC
	buffer_load_dwordx4 a[60:63], v45, s[12:15], 0 offen       // 00000000A7C0: E05C1000 80833C2D
	s_add_u32 s12, s78, s12                                    // 00000000A7C8: 800C0C4E
	s_addc_u32 s13, 0, s13                                     // 00000000A7CC: 820D0D80
	v_mfma_i32_16x16x32_i8 v[248:251], a[190:191], v[142:143], v[248:251]// 00000000A7D0: D3D700F8 0FE31DBE
	v_mfma_i32_16x16x32_i8 v[252:255], a[188:189], v[172:173], v[252:255]// 00000000A7D8: D3D700FC 0FF359BC
	v_mfma_i32_16x16x32_i8 v[252:255], a[190:191], v[174:175], v[252:255]// 00000000A7E0: D3D700FC 0FF35DBE
	s_waitcnt vmcnt(45)                                        // 00000000A7E8: BF8C8F7D
	v_mfma_i32_16x16x32_i8 v[224:227], a[192:193], v[144:145], v[224:227]// 00000000A7EC: D3D700E0 0F8321C0
	buffer_load_dwordx4 a[64:67], v42, s[12:15], 0 offen       // 00000000A7F4: E05C1000 8083402A
	v_mfma_i32_16x16x32_i8 v[224:227], a[194:195], v[146:147], v[224:227]// 00000000A7FC: D3D700E0 0F8325C2
	v_mfma_i32_16x16x32_i8 v[228:231], a[192:193], v[176:177], v[228:231]// 00000000A804: D3D700E4 0F9361C0
	v_mfma_i32_16x16x32_i8 v[228:231], a[194:195], v[178:179], v[228:231]// 00000000A80C: D3D700E4 0F9365C2
	v_mfma_i32_16x16x32_i8 v[232:235], a[196:197], v[144:145], v[232:235]// 00000000A814: D3D700E8 0FA321C4
	buffer_load_dwordx4 a[68:71], v43, s[12:15], 0 offen       // 00000000A81C: E05C1000 8083442B
	v_mfma_i32_16x16x32_i8 v[232:235], a[198:199], v[146:147], v[232:235]// 00000000A824: D3D700E8 0FA325C6
	v_mfma_i32_16x16x32_i8 v[236:239], a[196:197], v[176:177], v[236:239]// 00000000A82C: D3D700EC 0FB361C4
	v_mfma_i32_16x16x32_i8 v[236:239], a[198:199], v[178:179], v[236:239]// 00000000A834: D3D700EC 0FB365C6
	v_mfma_i32_16x16x32_i8 v[240:243], a[200:201], v[144:145], v[240:243]// 00000000A83C: D3D700F0 0FC321C8
	buffer_load_dwordx4 a[72:75], v44, s[12:15], 0 offen       // 00000000A844: E05C1000 8083482C
	v_mfma_i32_16x16x32_i8 v[240:243], a[202:203], v[146:147], v[240:243]// 00000000A84C: D3D700F0 0FC325CA
	v_mfma_i32_16x16x32_i8 v[244:247], a[200:201], v[176:177], v[244:247]// 00000000A854: D3D700F4 0FD361C8
	v_mfma_i32_16x16x32_i8 v[244:247], a[202:203], v[178:179], v[244:247]// 00000000A85C: D3D700F4 0FD365CA
	v_mfma_i32_16x16x32_i8 v[248:251], a[204:205], v[144:145], v[248:251]// 00000000A864: D3D700F8 0FE321CC
	buffer_load_dwordx4 a[76:79], v45, s[12:15], 0 offen       // 00000000A86C: E05C1000 80834C2D
	s_add_u32 s12, s78, s12                                    // 00000000A874: 800C0C4E
	s_addc_u32 s13, 0, s13                                     // 00000000A878: 820D0D80
	v_mfma_i32_16x16x32_i8 v[248:251], a[206:207], v[146:147], v[248:251]// 00000000A87C: D3D700F8 0FE325CE
	v_mfma_i32_16x16x32_i8 v[252:255], a[204:205], v[176:177], v[252:255]// 00000000A884: D3D700FC 0FF361CC
	v_mfma_i32_16x16x32_i8 v[252:255], a[206:207], v[178:179], v[252:255]// 00000000A88C: D3D700FC 0FF365CE
	s_waitcnt vmcnt(45)                                        // 00000000A894: BF8C8F7D
	v_mfma_i32_16x16x32_i8 v[224:227], a[208:209], v[148:149], v[224:227]// 00000000A898: D3D700E0 0F8329D0
	buffer_load_dwordx4 a[80:83], v42, s[12:15], 0 offen       // 00000000A8A0: E05C1000 8083502A
	v_mfma_i32_16x16x32_i8 v[224:227], a[210:211], v[150:151], v[224:227]// 00000000A8A8: D3D700E0 0F832DD2
	v_mfma_i32_16x16x32_i8 v[228:231], a[208:209], v[180:181], v[228:231]// 00000000A8B0: D3D700E4 0F9369D0
	v_mfma_i32_16x16x32_i8 v[228:231], a[210:211], v[182:183], v[228:231]// 00000000A8B8: D3D700E4 0F936DD2
	v_mfma_i32_16x16x32_i8 v[232:235], a[212:213], v[148:149], v[232:235]// 00000000A8C0: D3D700E8 0FA329D4
	buffer_load_dwordx4 a[84:87], v43, s[12:15], 0 offen       // 00000000A8C8: E05C1000 8083542B
	v_mfma_i32_16x16x32_i8 v[232:235], a[214:215], v[150:151], v[232:235]// 00000000A8D0: D3D700E8 0FA32DD6
	v_mfma_i32_16x16x32_i8 v[236:239], a[212:213], v[180:181], v[236:239]// 00000000A8D8: D3D700EC 0FB369D4
	v_mfma_i32_16x16x32_i8 v[236:239], a[214:215], v[182:183], v[236:239]// 00000000A8E0: D3D700EC 0FB36DD6
	v_mfma_i32_16x16x32_i8 v[240:243], a[216:217], v[148:149], v[240:243]// 00000000A8E8: D3D700F0 0FC329D8
	buffer_load_dwordx4 a[88:91], v44, s[12:15], 0 offen       // 00000000A8F0: E05C1000 8083582C
	v_mfma_i32_16x16x32_i8 v[240:243], a[218:219], v[150:151], v[240:243]// 00000000A8F8: D3D700F0 0FC32DDA
	v_mfma_i32_16x16x32_i8 v[244:247], a[216:217], v[180:181], v[244:247]// 00000000A900: D3D700F4 0FD369D8
	v_mfma_i32_16x16x32_i8 v[244:247], a[218:219], v[182:183], v[244:247]// 00000000A908: D3D700F4 0FD36DDA
	v_mfma_i32_16x16x32_i8 v[248:251], a[220:221], v[148:149], v[248:251]// 00000000A910: D3D700F8 0FE329DC
	buffer_load_dwordx4 a[92:95], v45, s[12:15], 0 offen       // 00000000A918: E05C1000 80835C2D
	s_add_u32 s12, s78, s12                                    // 00000000A920: 800C0C4E
	s_addc_u32 s13, 0, s13                                     // 00000000A924: 820D0D80
	v_mfma_i32_16x16x32_i8 v[248:251], a[222:223], v[150:151], v[248:251]// 00000000A928: D3D700F8 0FE32DDE
	v_mfma_i32_16x16x32_i8 v[252:255], a[220:221], v[180:181], v[252:255]// 00000000A930: D3D700FC 0FF369DC
	v_mfma_i32_16x16x32_i8 v[252:255], a[222:223], v[182:183], v[252:255]// 00000000A938: D3D700FC 0FF36DDE
	s_waitcnt vmcnt(45)                                        // 00000000A940: BF8C8F7D
	v_mfma_i32_16x16x32_i8 v[224:227], a[224:225], v[152:153], v[224:227]// 00000000A944: D3D700E0 0F8331E0
	buffer_load_dwordx4 a[96:99], v42, s[12:15], 0 offen       // 00000000A94C: E05C1000 8083602A
	v_mfma_i32_16x16x32_i8 v[224:227], a[226:227], v[154:155], v[224:227]// 00000000A954: D3D700E0 0F8335E2
	v_mfma_i32_16x16x32_i8 v[228:231], a[224:225], v[184:185], v[228:231]// 00000000A95C: D3D700E4 0F9371E0
	v_mfma_i32_16x16x32_i8 v[228:231], a[226:227], v[186:187], v[228:231]// 00000000A964: D3D700E4 0F9375E2
	v_mfma_i32_16x16x32_i8 v[232:235], a[228:229], v[152:153], v[232:235]// 00000000A96C: D3D700E8 0FA331E4
	buffer_load_dwordx4 a[100:103], v43, s[12:15], 0 offen     // 00000000A974: E05C1000 8083642B
	v_mfma_i32_16x16x32_i8 v[232:235], a[230:231], v[154:155], v[232:235]// 00000000A97C: D3D700E8 0FA335E6
	v_mfma_i32_16x16x32_i8 v[236:239], a[228:229], v[184:185], v[236:239]// 00000000A984: D3D700EC 0FB371E4
	v_mfma_i32_16x16x32_i8 v[236:239], a[230:231], v[186:187], v[236:239]// 00000000A98C: D3D700EC 0FB375E6
	v_mfma_i32_16x16x32_i8 v[240:243], a[232:233], v[152:153], v[240:243]// 00000000A994: D3D700F0 0FC331E8
	buffer_load_dwordx4 a[104:107], v44, s[12:15], 0 offen     // 00000000A99C: E05C1000 8083682C
	v_mfma_i32_16x16x32_i8 v[240:243], a[234:235], v[154:155], v[240:243]// 00000000A9A4: D3D700F0 0FC335EA
	v_mfma_i32_16x16x32_i8 v[244:247], a[232:233], v[184:185], v[244:247]// 00000000A9AC: D3D700F4 0FD371E8
	v_mfma_i32_16x16x32_i8 v[244:247], a[234:235], v[186:187], v[244:247]// 00000000A9B4: D3D700F4 0FD375EA
	v_mfma_i32_16x16x32_i8 v[248:251], a[236:237], v[152:153], v[248:251]// 00000000A9BC: D3D700F8 0FE331EC
	buffer_load_dwordx4 a[108:111], v45, s[12:15], 0 offen     // 00000000A9C4: E05C1000 80836C2D
	s_add_u32 s12, s78, s12                                    // 00000000A9CC: 800C0C4E
	s_addc_u32 s13, 0, s13                                     // 00000000A9D0: 820D0D80
	v_mfma_i32_16x16x32_i8 v[248:251], a[238:239], v[154:155], v[248:251]// 00000000A9D4: D3D700F8 0FE335EE
	v_mfma_i32_16x16x32_i8 v[252:255], a[236:237], v[184:185], v[252:255]// 00000000A9DC: D3D700FC 0FF371EC
	v_mfma_i32_16x16x32_i8 v[252:255], a[238:239], v[186:187], v[252:255]// 00000000A9E4: D3D700FC 0FF375EE
	s_waitcnt vmcnt(44)                                        // 00000000A9EC: BF8C8F7C
	v_mfma_i32_16x16x32_i8 v[224:227], a[240:241], v[156:157], v[224:227]// 00000000A9F0: D3D700E0 0F8339F0
	buffer_load_dwordx4 a[112:115], v42, s[12:15], 0 offen     // 00000000A9F8: E05C1000 8083702A
	v_mfma_i32_16x16x32_i8 v[224:227], a[242:243], v[158:159], v[224:227]// 00000000AA00: D3D700E0 0F833DF2
	v_mfma_i32_16x16x32_i8 v[228:231], a[240:241], v[188:189], v[228:231]// 00000000AA08: D3D700E4 0F9379F0
	buffer_load_dword v12, v5, s[16:19], 0 offen               // 00000000AA10: E0501000 80040C05
	v_mfma_i32_16x16x32_i8 v[228:231], a[242:243], v[190:191], v[228:231]// 00000000AA18: D3D700E4 0F937DF2
	v_mfma_i32_16x16x32_i8 v[232:235], a[244:245], v[156:157], v[232:235]// 00000000AA20: D3D700E8 0FA339F4
	buffer_load_dwordx4 a[116:119], v43, s[12:15], 0 offen     // 00000000AA28: E05C1000 8083742B
	v_mfma_i32_16x16x32_i8 v[232:235], a[246:247], v[158:159], v[232:235]// 00000000AA30: D3D700E8 0FA33DF6
	v_mfma_i32_16x16x32_i8 v[236:239], a[244:245], v[188:189], v[236:239]// 00000000AA38: D3D700EC 0FB379F4
	v_mfma_i32_16x16x32_i8 v[236:239], a[246:247], v[190:191], v[236:239]// 00000000AA40: D3D700EC 0FB37DF6
	v_mfma_i32_16x16x32_i8 v[240:243], a[248:249], v[156:157], v[240:243]// 00000000AA48: D3D700F0 0FC339F8
	buffer_load_dwordx4 a[120:123], v44, s[12:15], 0 offen     // 00000000AA50: E05C1000 8083782C
	v_mfma_i32_16x16x32_i8 v[240:243], a[250:251], v[158:159], v[240:243]// 00000000AA58: D3D700F0 0FC33DFA
	v_mfma_i32_16x16x32_i8 v[244:247], a[248:249], v[188:189], v[244:247]// 00000000AA60: D3D700F4 0FD379F8
	v_mfma_i32_16x16x32_i8 v[244:247], a[250:251], v[190:191], v[244:247]// 00000000AA68: D3D700F4 0FD37DFA
	v_mfma_i32_16x16x32_i8 v[248:251], a[252:253], v[156:157], v[248:251]// 00000000AA70: D3D700F8 0FE339FC
	buffer_load_dwordx4 a[124:127], v45, s[12:15], 0 offen     // 00000000AA78: E05C1000 80837C2D
	v_mfma_i32_16x16x32_i8 v[248:251], a[254:255], v[158:159], v[248:251]// 00000000AA80: D3D700F8 0FE33DFE
	v_mfma_i32_16x16x32_i8 v[252:255], a[252:253], v[188:189], v[252:255]// 00000000AA88: D3D700FC 0FF379FC
	v_mfma_i32_16x16x32_i8 v[252:255], a[254:255], v[190:191], v[252:255]// 00000000AA90: D3D700FC 0FF37DFE
	s_add_u32 s60, 0x200, s80                                  // 00000000AA98: 803C50FF 00000200
	s_cmp_lt_u32 s60, s81                                      // 00000000AAA0: BF0A513C
	s_cselect_b32 s56, s56, 0                                  // 00000000AAA4: 85388038
	s_cselect_b32 s78, s78, 0                                  // 00000000AAA8: 854E804E
	s_cselect_b32 s79, s79, 0                                  // 00000000AAAC: 854F804F
	s_add_u32 s12, s56, s12                                    // 00000000AAB0: 800C0C38
	s_addc_u32 s13, 0, s13                                     // 00000000AAB4: 820D0D80
	s_add_u32 s16, s79, s16                                    // 00000000AAB8: 8010104F
	s_addc_u32 s17, 0, s17                                     // 00000000AABC: 82111180
	v_cvt_f32_i32_e32 v224, v224                               // 00000000AAC0: 7FC00BE0
	v_cvt_f32_i32_e32 v225, v225                               // 00000000AAC4: 7FC20BE1
	v_cvt_f32_i32_e32 v226, v226                               // 00000000AAC8: 7FC40BE2
	v_cvt_f32_i32_e32 v227, v227                               // 00000000AACC: 7FC60BE3
	v_mul_f32_e32 v224, v24, v224                              // 00000000AAD0: 0BC1C118
	v_mul_f32_e32 v225, v24, v225                              // 00000000AAD4: 0BC3C318
	v_mul_f32_e32 v226, v24, v226                              // 00000000AAD8: 0BC5C518
	v_mul_f32_e32 v227, v24, v227                              // 00000000AADC: 0BC7C718
	v_mul_f32_dpp v224, v13, v224 row_newbcast:0 row_mask:0xf bank_mask:0xf// 00000000AAE0: 0BC1C0FA FF01500D
	v_mul_f32_dpp v225, v13, v225 row_newbcast:1 row_mask:0xf bank_mask:0xf// 00000000AAE8: 0BC3C2FA FF01510D
	v_mul_f32_dpp v226, v13, v226 row_newbcast:2 row_mask:0xf bank_mask:0xf// 00000000AAF0: 0BC5C4FA FF01520D
	v_mul_f32_dpp v227, v13, v227 row_newbcast:3 row_mask:0xf bank_mask:0xf// 00000000AAF8: 0BC7C6FA FF01530D
	v_mul_f32_e32 v224, v20, v224                              // 00000000AB00: 0BC1C114
	v_mul_f32_e32 v225, v20, v225                              // 00000000AB04: 0BC3C314
	v_mul_f32_e32 v226, v20, v226                              // 00000000AB08: 0BC5C514
	v_mul_f32_e32 v227, v20, v227                              // 00000000AB0C: 0BC7C714
	v_cvt_f32_i32_e32 v228, v228                               // 00000000AB10: 7FC80BE4
	v_cvt_f32_i32_e32 v229, v229                               // 00000000AB14: 7FCA0BE5
	v_cvt_f32_i32_e32 v230, v230                               // 00000000AB18: 7FCC0BE6
	v_cvt_f32_i32_e32 v231, v231                               // 00000000AB1C: 7FCE0BE7
	v_mul_f32_e32 v228, v25, v228                              // 00000000AB20: 0BC9C919
	v_mul_f32_e32 v229, v25, v229                              // 00000000AB24: 0BCBCB19
	v_mul_f32_e32 v230, v25, v230                              // 00000000AB28: 0BCDCD19
	v_mul_f32_e32 v231, v25, v231                              // 00000000AB2C: 0BCFCF19
	v_mul_f32_dpp v228, v13, v228 row_newbcast:0 row_mask:0xf bank_mask:0xf// 00000000AB30: 0BC9C8FA FF01500D
	v_mul_f32_dpp v229, v13, v229 row_newbcast:1 row_mask:0xf bank_mask:0xf// 00000000AB38: 0BCBCAFA FF01510D
	v_mul_f32_dpp v230, v13, v230 row_newbcast:2 row_mask:0xf bank_mask:0xf// 00000000AB40: 0BCDCCFA FF01520D
	v_mul_f32_dpp v231, v13, v231 row_newbcast:3 row_mask:0xf bank_mask:0xf// 00000000AB48: 0BCFCEFA FF01530D
	v_mul_f32_e32 v228, v21, v228                              // 00000000AB50: 0BC9C915
	v_mul_f32_e32 v229, v21, v229                              // 00000000AB54: 0BCBCB15
	v_mul_f32_e32 v230, v21, v230                              // 00000000AB58: 0BCDCD15
	v_mul_f32_e32 v231, v21, v231                              // 00000000AB5C: 0BCFCF15
	v_cvt_f32_i32_e32 v232, v232                               // 00000000AB60: 7FD00BE8
	v_cvt_f32_i32_e32 v233, v233                               // 00000000AB64: 7FD20BE9
	v_cvt_f32_i32_e32 v234, v234                               // 00000000AB68: 7FD40BEA
	v_cvt_f32_i32_e32 v235, v235                               // 00000000AB6C: 7FD60BEB
	v_mul_f32_e32 v232, v24, v232                              // 00000000AB70: 0BD1D118
	v_mul_f32_e32 v233, v24, v233                              // 00000000AB74: 0BD3D318
	v_mul_f32_e32 v234, v24, v234                              // 00000000AB78: 0BD5D518
	v_mul_f32_e32 v235, v24, v235                              // 00000000AB7C: 0BD7D718
	v_mul_f32_dpp v232, v13, v232 row_newbcast:4 row_mask:0xf bank_mask:0xf// 00000000AB80: 0BD1D0FA FF01540D
	v_mul_f32_dpp v233, v13, v233 row_newbcast:5 row_mask:0xf bank_mask:0xf// 00000000AB88: 0BD3D2FA FF01550D
	v_mul_f32_dpp v234, v13, v234 row_newbcast:6 row_mask:0xf bank_mask:0xf// 00000000AB90: 0BD5D4FA FF01560D
	v_mul_f32_dpp v235, v13, v235 row_newbcast:7 row_mask:0xf bank_mask:0xf// 00000000AB98: 0BD7D6FA FF01570D
	v_mul_f32_e32 v232, v20, v232                              // 00000000ABA0: 0BD1D114
	v_mul_f32_e32 v233, v20, v233                              // 00000000ABA4: 0BD3D314
	v_mul_f32_e32 v234, v20, v234                              // 00000000ABA8: 0BD5D514
	v_mul_f32_e32 v235, v20, v235                              // 00000000ABAC: 0BD7D714
	v_cvt_f32_i32_e32 v236, v236                               // 00000000ABB0: 7FD80BEC
	v_cvt_f32_i32_e32 v237, v237                               // 00000000ABB4: 7FDA0BED
	v_cvt_f32_i32_e32 v238, v238                               // 00000000ABB8: 7FDC0BEE
	v_cvt_f32_i32_e32 v239, v239                               // 00000000ABBC: 7FDE0BEF
	v_mul_f32_e32 v236, v25, v236                              // 00000000ABC0: 0BD9D919
	v_mul_f32_e32 v237, v25, v237                              // 00000000ABC4: 0BDBDB19
	v_mul_f32_e32 v238, v25, v238                              // 00000000ABC8: 0BDDDD19
	v_mul_f32_e32 v239, v25, v239                              // 00000000ABCC: 0BDFDF19
	v_mul_f32_dpp v236, v13, v236 row_newbcast:4 row_mask:0xf bank_mask:0xf// 00000000ABD0: 0BD9D8FA FF01540D
	v_mul_f32_dpp v237, v13, v237 row_newbcast:5 row_mask:0xf bank_mask:0xf// 00000000ABD8: 0BDBDAFA FF01550D
	v_mul_f32_dpp v238, v13, v238 row_newbcast:6 row_mask:0xf bank_mask:0xf// 00000000ABE0: 0BDDDCFA FF01560D
	v_mul_f32_dpp v239, v13, v239 row_newbcast:7 row_mask:0xf bank_mask:0xf// 00000000ABE8: 0BDFDEFA FF01570D
	v_mul_f32_e32 v236, v21, v236                              // 00000000ABF0: 0BD9D915
	v_mul_f32_e32 v237, v21, v237                              // 00000000ABF4: 0BDBDB15
	v_mul_f32_e32 v238, v21, v238                              // 00000000ABF8: 0BDDDD15
	v_mul_f32_e32 v239, v21, v239                              // 00000000ABFC: 0BDFDF15
	v_cvt_f32_i32_e32 v240, v240                               // 00000000AC00: 7FE00BF0
	v_cvt_f32_i32_e32 v241, v241                               // 00000000AC04: 7FE20BF1
	v_cvt_f32_i32_e32 v242, v242                               // 00000000AC08: 7FE40BF2
	v_cvt_f32_i32_e32 v243, v243                               // 00000000AC0C: 7FE60BF3
	v_mul_f32_e32 v240, v24, v240                              // 00000000AC10: 0BE1E118
	v_mul_f32_e32 v241, v24, v241                              // 00000000AC14: 0BE3E318
	v_mul_f32_e32 v242, v24, v242                              // 00000000AC18: 0BE5E518
	v_mul_f32_e32 v243, v24, v243                              // 00000000AC1C: 0BE7E718
	v_mul_f32_dpp v240, v13, v240 row_newbcast:8 row_mask:0xf bank_mask:0xf// 00000000AC20: 0BE1E0FA FF01580D
	v_mul_f32_dpp v241, v13, v241 row_newbcast:9 row_mask:0xf bank_mask:0xf// 00000000AC28: 0BE3E2FA FF01590D
	v_mul_f32_dpp v242, v13, v242 row_newbcast:10 row_mask:0xf bank_mask:0xf// 00000000AC30: 0BE5E4FA FF015A0D
	v_mul_f32_dpp v243, v13, v243 row_newbcast:11 row_mask:0xf bank_mask:0xf// 00000000AC38: 0BE7E6FA FF015B0D
	v_mul_f32_e32 v240, v20, v240                              // 00000000AC40: 0BE1E114
	v_mul_f32_e32 v241, v20, v241                              // 00000000AC44: 0BE3E314
	v_mul_f32_e32 v242, v20, v242                              // 00000000AC48: 0BE5E514
	v_mul_f32_e32 v243, v20, v243                              // 00000000AC4C: 0BE7E714
	v_cvt_f32_i32_e32 v244, v244                               // 00000000AC50: 7FE80BF4
	v_cvt_f32_i32_e32 v245, v245                               // 00000000AC54: 7FEA0BF5
	v_cvt_f32_i32_e32 v246, v246                               // 00000000AC58: 7FEC0BF6
	v_cvt_f32_i32_e32 v247, v247                               // 00000000AC5C: 7FEE0BF7
	v_mul_f32_e32 v244, v25, v244                              // 00000000AC60: 0BE9E919
	v_mul_f32_e32 v245, v25, v245                              // 00000000AC64: 0BEBEB19
	v_mul_f32_e32 v246, v25, v246                              // 00000000AC68: 0BEDED19
	v_mul_f32_e32 v247, v25, v247                              // 00000000AC6C: 0BEFEF19
	v_mul_f32_dpp v244, v13, v244 row_newbcast:8 row_mask:0xf bank_mask:0xf// 00000000AC70: 0BE9E8FA FF01580D
	v_mul_f32_dpp v245, v13, v245 row_newbcast:9 row_mask:0xf bank_mask:0xf// 00000000AC78: 0BEBEAFA FF01590D
	v_mul_f32_dpp v246, v13, v246 row_newbcast:10 row_mask:0xf bank_mask:0xf// 00000000AC80: 0BEDECFA FF015A0D
	v_mul_f32_dpp v247, v13, v247 row_newbcast:11 row_mask:0xf bank_mask:0xf// 00000000AC88: 0BEFEEFA FF015B0D
	v_mul_f32_e32 v244, v21, v244                              // 00000000AC90: 0BE9E915
	v_mul_f32_e32 v245, v21, v245                              // 00000000AC94: 0BEBEB15
	v_mul_f32_e32 v246, v21, v246                              // 00000000AC98: 0BEDED15
	v_mul_f32_e32 v247, v21, v247                              // 00000000AC9C: 0BEFEF15
	v_cvt_f32_i32_e32 v248, v248                               // 00000000ACA0: 7FF00BF8
	v_cvt_f32_i32_e32 v249, v249                               // 00000000ACA4: 7FF20BF9
	v_cvt_f32_i32_e32 v250, v250                               // 00000000ACA8: 7FF40BFA
	v_cvt_f32_i32_e32 v251, v251                               // 00000000ACAC: 7FF60BFB
	v_mul_f32_e32 v248, v24, v248                              // 00000000ACB0: 0BF1F118
	v_mul_f32_e32 v249, v24, v249                              // 00000000ACB4: 0BF3F318
	v_mul_f32_e32 v250, v24, v250                              // 00000000ACB8: 0BF5F518
	v_mul_f32_e32 v251, v24, v251                              // 00000000ACBC: 0BF7F718
	v_mul_f32_dpp v248, v13, v248 row_newbcast:12 row_mask:0xf bank_mask:0xf// 00000000ACC0: 0BF1F0FA FF015C0D
	v_mul_f32_dpp v249, v13, v249 row_newbcast:13 row_mask:0xf bank_mask:0xf// 00000000ACC8: 0BF3F2FA FF015D0D
	v_mul_f32_dpp v250, v13, v250 row_newbcast:14 row_mask:0xf bank_mask:0xf// 00000000ACD0: 0BF5F4FA FF015E0D
	v_mul_f32_dpp v251, v13, v251 row_newbcast:15 row_mask:0xf bank_mask:0xf// 00000000ACD8: 0BF7F6FA FF015F0D
	v_mul_f32_e32 v248, v20, v248                              // 00000000ACE0: 0BF1F114
	v_mul_f32_e32 v249, v20, v249                              // 00000000ACE4: 0BF3F314
	v_mul_f32_e32 v250, v20, v250                              // 00000000ACE8: 0BF5F514
	v_mul_f32_e32 v251, v20, v251                              // 00000000ACEC: 0BF7F714
	v_cvt_f32_i32_e32 v252, v252                               // 00000000ACF0: 7FF80BFC
	v_cvt_f32_i32_e32 v253, v253                               // 00000000ACF4: 7FFA0BFD
	v_cvt_f32_i32_e32 v254, v254                               // 00000000ACF8: 7FFC0BFE
	v_cvt_f32_i32_e32 v255, v255                               // 00000000ACFC: 7FFE0BFF
	v_mul_f32_e32 v252, v25, v252                              // 00000000AD00: 0BF9F919
	v_mul_f32_e32 v253, v25, v253                              // 00000000AD04: 0BFBFB19
	v_mul_f32_e32 v254, v25, v254                              // 00000000AD08: 0BFDFD19
	v_mul_f32_e32 v255, v25, v255                              // 00000000AD0C: 0BFFFF19
	v_mul_f32_dpp v252, v13, v252 row_newbcast:12 row_mask:0xf bank_mask:0xf// 00000000AD10: 0BF9F8FA FF015C0D
	v_mul_f32_dpp v253, v13, v253 row_newbcast:13 row_mask:0xf bank_mask:0xf// 00000000AD18: 0BFBFAFA FF015D0D
	v_mul_f32_dpp v254, v13, v254 row_newbcast:14 row_mask:0xf bank_mask:0xf// 00000000AD20: 0BFDFCFA FF015E0D
	v_mul_f32_dpp v255, v13, v255 row_newbcast:15 row_mask:0xf bank_mask:0xf// 00000000AD28: 0BFFFEFA FF015F0D
	v_mul_f32_e32 v252, v21, v252                              // 00000000AD30: 0BF9F915
	v_mul_f32_e32 v253, v21, v253                              // 00000000AD34: 0BFBFB15
	v_mul_f32_e32 v254, v21, v254                              // 00000000AD38: 0BFDFD15
	v_mul_f32_e32 v255, v21, v255                              // 00000000AD3C: 0BFFFF15
	v_cvt_pkrtz_f16_f32 v224, v224, v225                       // 00000000AD40: D29600E0 0003C3E0
	v_cvt_pkrtz_f16_f32 v225, v226, v227                       // 00000000AD48: D29600E1 0003C7E2
	v_cvt_pkrtz_f16_f32 v226, v228, v229                       // 00000000AD50: D29600E2 0003CBE4
	v_cvt_pkrtz_f16_f32 v227, v230, v231                       // 00000000AD58: D29600E3 0003CFE6
	v_cvt_pkrtz_f16_f32 v228, v232, v233                       // 00000000AD60: D29600E4 0003D3E8
	v_cvt_pkrtz_f16_f32 v229, v234, v235                       // 00000000AD68: D29600E5 0003D7EA
	v_cvt_pkrtz_f16_f32 v230, v236, v237                       // 00000000AD70: D29600E6 0003DBEC
	v_cvt_pkrtz_f16_f32 v231, v238, v239                       // 00000000AD78: D29600E7 0003DFEE
	v_cvt_pkrtz_f16_f32 v232, v240, v241                       // 00000000AD80: D29600E8 0003E3F0
	v_cvt_pkrtz_f16_f32 v233, v242, v243                       // 00000000AD88: D29600E9 0003E7F2
	v_cvt_pkrtz_f16_f32 v234, v244, v245                       // 00000000AD90: D29600EA 0003EBF4
	v_cvt_pkrtz_f16_f32 v235, v246, v247                       // 00000000AD98: D29600EB 0003EFF6
	v_cvt_pkrtz_f16_f32 v236, v248, v249                       // 00000000ADA0: D29600EC 0003F3F8
	v_cvt_pkrtz_f16_f32 v237, v250, v251                       // 00000000ADA8: D29600ED 0003F7FA
	v_cvt_pkrtz_f16_f32 v238, v252, v253                       // 00000000ADB0: D29600EE 0003FBFC
	v_cvt_pkrtz_f16_f32 v239, v254, v255                       // 00000000ADB8: D29600EF 0003FFFE
	ds_write_b64 v3, v[224:225] offset:35072                   // 00000000ADC0: D89A8900 0000E003
	ds_write_b64 v3, v[226:227] offset:43776                   // 00000000ADC8: D89AAB00 0000E203
	ds_write_b64 v3, v[228:229] offset:37248                   // 00000000ADD0: D89A9180 0000E403
	ds_write_b64 v3, v[230:231] offset:45952                   // 00000000ADD8: D89AB380 0000E603
	ds_write_b64 v3, v[232:233] offset:39424                   // 00000000ADE0: D89A9A00 0000E803
	ds_write_b64 v3, v[234:235] offset:48128                   // 00000000ADE8: D89ABC00 0000EA03
	ds_write_b64 v3, v[236:237] offset:41600                   // 00000000ADF0: D89AA280 0000EC03
	ds_write_b64 v3, v[238:239] offset:50304                   // 00000000ADF8: D89AC480 0000EE03
	s_waitcnt lgkmcnt(0)                                       // 00000000AE00: BF8CC07F
	s_barrier                                                  // 00000000AE04: BF8A0000
	ds_read_b32 v64, v4 offset:35072                           // 00000000AE08: D86C8900 40000004
	ds_read_b32 v65, v4 offset:39424                           // 00000000AE10: D86C9A00 41000004
	ds_read_b32 v66, v4 offset:35104                           // 00000000AE18: D86C8920 42000004
	ds_read_b32 v67, v4 offset:39456                           // 00000000AE20: D86C9A20 43000004
	ds_read_b32 v68, v4 offset:35136                           // 00000000AE28: D86C8940 44000004
	ds_read_b32 v69, v4 offset:39488                           // 00000000AE30: D86C9A40 45000004
	ds_read_b32 v70, v4 offset:35168                           // 00000000AE38: D86C8960 46000004
	ds_read_b32 v71, v4 offset:39520                           // 00000000AE40: D86C9A60 47000004
	ds_read_b32 v72, v4 offset:43776                           // 00000000AE48: D86CAB00 48000004
	ds_read_b32 v73, v4 offset:48128                           // 00000000AE50: D86CBC00 49000004
	ds_read_b32 v74, v4 offset:43808                           // 00000000AE58: D86CAB20 4A000004
	ds_read_b32 v75, v4 offset:48160                           // 00000000AE60: D86CBC20 4B000004
	ds_read_b32 v76, v4 offset:43840                           // 00000000AE68: D86CAB40 4C000004
	ds_read_b32 v77, v4 offset:48192                           // 00000000AE70: D86CBC40 4D000004
	ds_read_b32 v78, v4 offset:43872                           // 00000000AE78: D86CAB60 4E000004
	ds_read_b32 v79, v4 offset:48224                           // 00000000AE80: D86CBC60 4F000004
	s_waitcnt lgkmcnt(0)                                       // 00000000AE88: BF8CC07F
	s_mov_b64 exec, s[20:21]                                   // 00000000AE8C: BEFE0114
	global_atomic_pk_add_f16 v80, v64, s[8:9]                  // 00000000AE90: DD388000 00084050
	s_mov_b64 exec, s[36:37]                                   // 00000000AE98: BEFE0124
	s_mov_b64 exec, s[20:21]                                   // 00000000AE9C: BEFE0114
	global_atomic_pk_add_f16 v80, v65, s[8:9] offset:256       // 00000000AEA0: DD388100 00084150
	s_mov_b64 exec, s[36:37]                                   // 00000000AEA8: BEFE0124
	s_mov_b64 exec, s[22:23]                                   // 00000000AEAC: BEFE0116
	global_atomic_pk_add_f16 v82, v66, s[8:9]                  // 00000000AEB0: DD388000 00084252
	s_mov_b64 exec, s[36:37]                                   // 00000000AEB8: BEFE0124
	s_mov_b64 exec, s[22:23]                                   // 00000000AEBC: BEFE0116
	global_atomic_pk_add_f16 v82, v67, s[8:9] offset:256       // 00000000AEC0: DD388100 00084352
	s_mov_b64 exec, s[36:37]                                   // 00000000AEC8: BEFE0124
	s_mov_b64 exec, s[24:25]                                   // 00000000AECC: BEFE0118
	global_atomic_pk_add_f16 v84, v68, s[8:9]                  // 00000000AED0: DD388000 00084454
	s_mov_b64 exec, s[36:37]                                   // 00000000AED8: BEFE0124
	s_mov_b64 exec, s[24:25]                                   // 00000000AEDC: BEFE0118
	global_atomic_pk_add_f16 v84, v69, s[8:9] offset:256       // 00000000AEE0: DD388100 00084554
	s_mov_b64 exec, s[36:37]                                   // 00000000AEE8: BEFE0124
	s_mov_b64 exec, s[26:27]                                   // 00000000AEEC: BEFE011A
	global_atomic_pk_add_f16 v86, v70, s[8:9]                  // 00000000AEF0: DD388000 00084656
	s_mov_b64 exec, s[36:37]                                   // 00000000AEF8: BEFE0124
	s_mov_b64 exec, s[26:27]                                   // 00000000AEFC: BEFE011A
	global_atomic_pk_add_f16 v86, v71, s[8:9] offset:256       // 00000000AF00: DD388100 00084756
	s_mov_b64 exec, s[36:37]                                   // 00000000AF08: BEFE0124
	s_mov_b64 exec, s[28:29]                                   // 00000000AF0C: BEFE011C
	global_atomic_pk_add_f16 v88, v72, s[8:9]                  // 00000000AF10: DD388000 00084858
	s_mov_b64 exec, s[36:37]                                   // 00000000AF18: BEFE0124
	s_mov_b64 exec, s[28:29]                                   // 00000000AF1C: BEFE011C
	global_atomic_pk_add_f16 v88, v73, s[8:9] offset:256       // 00000000AF20: DD388100 00084958
	s_mov_b64 exec, s[36:37]                                   // 00000000AF28: BEFE0124
	s_mov_b64 exec, s[30:31]                                   // 00000000AF2C: BEFE011E
	global_atomic_pk_add_f16 v90, v74, s[8:9]                  // 00000000AF30: DD388000 00084A5A
	s_mov_b64 exec, s[36:37]                                   // 00000000AF38: BEFE0124
	s_mov_b64 exec, s[30:31]                                   // 00000000AF3C: BEFE011E
	global_atomic_pk_add_f16 v90, v75, s[8:9] offset:256       // 00000000AF40: DD388100 00084B5A
	s_mov_b64 exec, s[36:37]                                   // 00000000AF48: BEFE0124
	s_mov_b64 exec, s[32:33]                                   // 00000000AF4C: BEFE0120
	global_atomic_pk_add_f16 v92, v76, s[8:9]                  // 00000000AF50: DD388000 00084C5C
	s_mov_b64 exec, s[36:37]                                   // 00000000AF58: BEFE0124
	s_mov_b64 exec, s[32:33]                                   // 00000000AF5C: BEFE0120
	global_atomic_pk_add_f16 v92, v77, s[8:9] offset:256       // 00000000AF60: DD388100 00084D5C
	s_mov_b64 exec, s[36:37]                                   // 00000000AF68: BEFE0124
	s_mov_b64 exec, s[34:35]                                   // 00000000AF6C: BEFE0122
	global_atomic_pk_add_f16 v94, v78, s[8:9]                  // 00000000AF70: DD388000 00084E5E
	s_mov_b64 exec, s[36:37]                                   // 00000000AF78: BEFE0124
	s_mov_b64 exec, s[34:35]                                   // 00000000AF7C: BEFE0122
	global_atomic_pk_add_f16 v94, v79, s[8:9] offset:256       // 00000000AF80: DD388100 00084F5E
	s_mov_b64 exec, s[36:37]                                   // 00000000AF88: BEFE0124
	s_add_u32 s8, s59, s8                                      // 00000000AF8C: 8008083B
	s_addc_u32 s9, 0, s9                                       // 00000000AF90: 82090980
	s_addk_i32 s80, 0x100                                      // 00000000AF94: B7500100
	s_cmp_lt_i32 s80, s81                                      // 00000000AF98: BF045150
	s_cbranch_scc0 label_1185                                  // 00000000AF9C: BF84F11D
	s_branch label_1B32                                        // 00000000AFA0: BF82FAC9

000000000000afa4 <label_2069>:
	s_waitcnt vmcnt(0) expcnt(0) lgkmcnt(0)                    // 00000000AFA4: BF8C0000
	s_endpgm                                                   // 00000000AFA8: BF810000
